;; amdgpu-corpus repo=ROCm/rocSPARSE kind=compiled arch=gfx1100 opt=O3
	.text
	.amdgcn_target "amdgcn-amd-amdhsa--gfx1100"
	.amdhsa_code_object_version 6
	.section	.text._ZN9rocsparseL36gtsv_interleaved_batch_thomas_kernelILj128EfEEviiiPKT0_S3_S3_PS1_S4_S4_,"axG",@progbits,_ZN9rocsparseL36gtsv_interleaved_batch_thomas_kernelILj128EfEEviiiPKT0_S3_S3_PS1_S4_S4_,comdat
	.globl	_ZN9rocsparseL36gtsv_interleaved_batch_thomas_kernelILj128EfEEviiiPKT0_S3_S3_PS1_S4_S4_ ; -- Begin function _ZN9rocsparseL36gtsv_interleaved_batch_thomas_kernelILj128EfEEviiiPKT0_S3_S3_PS1_S4_S4_
	.p2align	8
	.type	_ZN9rocsparseL36gtsv_interleaved_batch_thomas_kernelILj128EfEEviiiPKT0_S3_S3_PS1_S4_S4_,@function
_ZN9rocsparseL36gtsv_interleaved_batch_thomas_kernelILj128EfEEviiiPKT0_S3_S3_PS1_S4_S4_: ; @_ZN9rocsparseL36gtsv_interleaved_batch_thomas_kernelILj128EfEEviiiPKT0_S3_S3_PS1_S4_S4_
; %bb.0:
	s_load_b128 s[16:19], s[0:1], 0x0
	s_lshl_b32 s20, s15, 7
	s_mov_b32 s2, exec_lo
	v_or_b32_e32 v1, s20, v0
	s_waitcnt lgkmcnt(0)
	s_delay_alu instid0(VALU_DEP_1)
	v_cmpx_gt_i32_e64 s17, v1
	s_cbranch_execz .LBB0_9
; %bb.1:
	s_clause 0x1
	s_load_b256 s[4:11], s[0:1], 0x18
	s_load_b64 s[12:13], s[0:1], 0x38
	v_ashrrev_i32_e32 v2, 31, v1
	s_cmp_gt_i32 s16, 1
	s_cselect_b32 s24, -1, 0
	s_delay_alu instid0(VALU_DEP_1) | instskip(SKIP_1) | instid1(VALU_DEP_1)
	v_lshlrev_b64 v[8:9], 2, v[1:2]
	s_waitcnt lgkmcnt(0)
	v_add_co_u32 v3, vcc_lo, s6, v8
	s_delay_alu instid0(VALU_DEP_2)
	v_add_co_ci_u32_e32 v4, vcc_lo, s7, v9, vcc_lo
	v_add_co_u32 v5, vcc_lo, s4, v8
	v_add_co_ci_u32_e32 v6, vcc_lo, s5, v9, vcc_lo
	v_add_co_u32 v1, vcc_lo, s12, v8
	v_add_co_ci_u32_e32 v2, vcc_lo, s13, v9, vcc_lo
	global_load_b32 v7, v[3:4], off
	global_load_b32 v10, v[5:6], off
	;; [unrolled: 1-line block ×3, first 2 shown]
	s_waitcnt vmcnt(1)
	v_div_scale_f32 v3, null, v10, v10, v7
	s_waitcnt vmcnt(0)
	v_div_scale_f32 v5, null, v10, v10, v11
	v_div_scale_f32 v13, vcc_lo, v7, v10, v7
	s_delay_alu instid0(VALU_DEP_3) | instskip(NEXT) | instid1(VALU_DEP_2)
	v_rcp_f32_e32 v6, v3
	v_rcp_f32_e32 v12, v5
	v_div_scale_f32 v15, s2, v11, v10, v11
	s_waitcnt_depctr 0xfff
	v_fma_f32 v4, -v3, v6, 1.0
	v_fma_f32 v14, -v5, v12, 1.0
	s_delay_alu instid0(VALU_DEP_2) | instskip(NEXT) | instid1(VALU_DEP_2)
	v_fmac_f32_e32 v6, v4, v6
	v_fmac_f32_e32 v12, v14, v12
	s_delay_alu instid0(VALU_DEP_2) | instskip(NEXT) | instid1(VALU_DEP_2)
	v_mul_f32_e32 v14, v13, v6
	v_mul_f32_e32 v16, v15, v12
	s_delay_alu instid0(VALU_DEP_2) | instskip(NEXT) | instid1(VALU_DEP_2)
	v_fma_f32 v4, -v3, v14, v13
	v_fma_f32 v17, -v5, v16, v15
	s_delay_alu instid0(VALU_DEP_2) | instskip(NEXT) | instid1(VALU_DEP_2)
	v_fmac_f32_e32 v14, v4, v6
	v_fmac_f32_e32 v16, v17, v12
	s_delay_alu instid0(VALU_DEP_2) | instskip(NEXT) | instid1(VALU_DEP_2)
	v_fma_f32 v13, -v3, v14, v13
	v_fma_f32 v5, -v5, v16, v15
	v_add_co_u32 v3, s3, s8, v8
	s_delay_alu instid0(VALU_DEP_1) | instskip(NEXT) | instid1(VALU_DEP_4)
	v_add_co_ci_u32_e64 v4, s3, s9, v9, s3
	v_div_fmas_f32 v13, v13, v6, v14
	s_mov_b32 vcc_lo, s2
	v_div_fmas_f32 v12, v5, v12, v16
	v_add_co_u32 v5, vcc_lo, s10, v8
	v_add_co_ci_u32_e32 v6, vcc_lo, s11, v9, vcc_lo
	v_div_fixup_f32 v7, v13, v10, v7
	s_delay_alu instid0(VALU_DEP_4)
	v_div_fixup_f32 v10, v12, v10, v11
	s_and_b32 vcc_lo, exec_lo, s24
	global_store_b32 v[3:4], v7, off
	global_store_b32 v[5:6], v10, off
	s_cbranch_vccnz .LBB0_3
; %bb.2:
	s_add_i32 s19, s16, -1
	s_cbranch_execz .LBB0_4
	s_branch .LBB0_6
.LBB0_3:
                                        ; implicit-def: $sgpr19
.LBB0_4:
	s_load_b64 s[2:3], s[0:1], 0x10
	s_ashr_i32 s19, s18, 31
	s_ashr_i32 s1, s17, 31
	s_lshl_b64 s[14:15], s[18:19], 2
	s_mov_b32 s0, s17
	v_add_co_u32 v10, vcc_lo, s14, v8
	v_add3_u32 v7, s20, s18, v0
	s_lshl_b64 s[20:21], s[0:1], 2
	v_add_co_ci_u32_e32 v11, vcc_lo, s15, v9, vcc_lo
	v_add_co_u32 v0, vcc_lo, s20, v8
	v_add_co_ci_u32_e32 v9, vcc_lo, s21, v9, vcc_lo
	s_add_i32 s19, s16, -1
	s_mov_b32 s22, 0
	s_mov_b32 s1, s19
.LBB0_5:                                ; =>This Inner Loop Header: Depth=1
	v_add_co_u32 v12, vcc_lo, s6, v10
	v_ashrrev_i32_e32 v8, 31, v7
	v_add_co_ci_u32_e32 v13, vcc_lo, s7, v11, vcc_lo
	s_ashr_i32 s23, s22, 31
	v_add_co_u32 v14, vcc_lo, s4, v10
	s_lshl_b64 s[26:27], s[22:23], 2
	v_add_co_ci_u32_e32 v15, vcc_lo, s5, v11, vcc_lo
	v_add_co_u32 v16, vcc_lo, v3, s26
	v_lshlrev_b64 v[18:19], 2, v[7:8]
	v_add_co_ci_u32_e32 v17, vcc_lo, s27, v4, vcc_lo
	global_load_b32 v8, v[14:15], off
	global_load_b32 v20, v[16:17], off
	s_waitcnt lgkmcnt(0)
	v_add_co_u32 v14, vcc_lo, s2, v18
	v_add_co_ci_u32_e32 v15, vcc_lo, s3, v19, vcc_lo
	global_load_b32 v21, v[14:15], off
	global_load_b32 v19, v[12:13], off
	v_add_co_u32 v12, vcc_lo, s12, v10
	v_add_co_ci_u32_e32 v13, vcc_lo, s13, v11, vcc_lo
	v_add_co_u32 v14, vcc_lo, s8, v0
	v_add_co_ci_u32_e32 v15, vcc_lo, s9, v9, vcc_lo
	v_add_co_u32 v18, s0, v5, s26
	v_add_nc_u32_e32 v7, s18, v7
	s_add_i32 s1, s1, -1
	s_add_i32 s22, s22, s17
	s_cmp_eq_u32 s1, 0
	s_waitcnt vmcnt(1)
	v_fma_f32 v20, -v21, v20, v8
	s_waitcnt vmcnt(0)
	s_delay_alu instid0(VALU_DEP_1) | instskip(SKIP_1) | instid1(VALU_DEP_2)
	v_div_scale_f32 v22, null, v20, v20, v19
	v_div_scale_f32 v24, vcc_lo, v19, v20, v19
	v_rcp_f32_e32 v23, v22
	s_waitcnt_depctr 0xfff
	v_fma_f32 v25, -v22, v23, 1.0
	s_delay_alu instid0(VALU_DEP_1) | instskip(NEXT) | instid1(VALU_DEP_1)
	v_fmac_f32_e32 v23, v25, v23
	v_mul_f32_e32 v25, v24, v23
	s_delay_alu instid0(VALU_DEP_1) | instskip(NEXT) | instid1(VALU_DEP_1)
	v_fma_f32 v26, -v22, v25, v24
	v_fmac_f32_e32 v25, v26, v23
	s_delay_alu instid0(VALU_DEP_1) | instskip(NEXT) | instid1(VALU_DEP_1)
	v_fma_f32 v22, -v22, v25, v24
	v_div_fmas_f32 v22, v22, v23, v25
	s_delay_alu instid0(VALU_DEP_1)
	v_div_fixup_f32 v20, v22, v20, v19
	v_add_co_ci_u32_e64 v19, vcc_lo, s27, v6, s0
	global_load_b32 v12, v[12:13], off
	global_load_b32 v13, v[18:19], off
	global_store_b32 v[14:15], v20, off
	global_load_b32 v14, v[16:17], off
	s_waitcnt vmcnt(1)
	v_fma_f32 v15, -v21, v13, v12
	s_waitcnt vmcnt(0)
	v_fma_f32 v8, -v21, v14, v8
	s_delay_alu instid0(VALU_DEP_1) | instskip(SKIP_1) | instid1(VALU_DEP_2)
	v_div_scale_f32 v14, null, v8, v8, v15
	v_div_scale_f32 v17, vcc_lo, v15, v8, v15
	v_rcp_f32_e32 v16, v14
	s_waitcnt_depctr 0xfff
	v_fma_f32 v12, -v14, v16, 1.0
	s_delay_alu instid0(VALU_DEP_1) | instskip(SKIP_1) | instid1(VALU_DEP_2)
	v_fmac_f32_e32 v16, v12, v16
	v_add_co_u32 v12, s0, s10, v0
	v_mul_f32_e32 v18, v17, v16
	s_delay_alu instid0(VALU_DEP_1) | instskip(NEXT) | instid1(VALU_DEP_1)
	v_fma_f32 v13, -v14, v18, v17
	v_fmac_f32_e32 v18, v13, v16
	v_add_co_ci_u32_e64 v13, s0, s11, v9, s0
	v_add_co_u32 v10, s0, v10, s14
	s_delay_alu instid0(VALU_DEP_3) | instskip(SKIP_1) | instid1(VALU_DEP_2)
	v_fma_f32 v14, -v14, v18, v17
	v_add_co_ci_u32_e64 v11, s0, s15, v11, s0
	v_div_fmas_f32 v14, v14, v16, v18
	v_add_co_u32 v0, vcc_lo, v0, s20
	v_add_co_ci_u32_e32 v9, vcc_lo, s21, v9, vcc_lo
	s_delay_alu instid0(VALU_DEP_3)
	v_div_fixup_f32 v8, v14, v8, v15
	global_store_b32 v[12:13], v8, off
	s_cbranch_scc0 .LBB0_5
.LBB0_6:
	s_mul_i32 s0, s19, s17
	s_delay_alu instid0(SALU_CYCLE_1) | instskip(NEXT) | instid1(SALU_CYCLE_1)
	s_ashr_i32 s1, s0, 31
	s_lshl_b64 s[0:1], s[0:1], 2
	s_delay_alu instid0(SALU_CYCLE_1) | instskip(SKIP_2) | instid1(SALU_CYCLE_1)
	v_add_co_u32 v7, vcc_lo, v5, s0
	v_add_co_ci_u32_e32 v8, vcc_lo, s1, v6, vcc_lo
	s_mul_i32 s0, s19, s18
	s_ashr_i32 s1, s0, 31
	global_load_b32 v0, v[7:8], off
	s_lshl_b64 s[2:3], s[0:1], 2
	s_delay_alu instid0(SALU_CYCLE_1)
	v_add_co_u32 v7, vcc_lo, v1, s2
	v_add_co_ci_u32_e32 v8, vcc_lo, s3, v2, vcc_lo
	s_and_not1_b32 vcc_lo, exec_lo, s24
	s_waitcnt vmcnt(0)
	global_store_b32 v[7:8], v0, off
	s_cbranch_vccnz .LBB0_9
; %bb.7:
	s_add_i32 s2, s16, -2
	s_mov_b32 s4, 0
	s_mul_i32 s1, s18, s2
	s_mul_i32 s2, s17, s2
	s_set_inst_prefetch_distance 0x1
	.p2align	6
.LBB0_8:                                ; =>This Inner Loop Header: Depth=1
	s_ashr_i32 s3, s2, 31
	s_add_i32 s6, s0, s4
	s_lshl_b64 s[8:9], s[2:3], 2
	s_ashr_i32 s7, s6, 31
	v_add_co_u32 v7, vcc_lo, v5, s8
	v_add_co_ci_u32_e32 v8, vcc_lo, s9, v6, vcc_lo
	v_add_co_u32 v9, vcc_lo, v3, s8
	s_lshl_b64 s[6:7], s[6:7], 2
	v_add_co_ci_u32_e32 v10, vcc_lo, s9, v4, vcc_lo
	v_add_co_u32 v11, vcc_lo, v1, s6
	v_add_co_ci_u32_e32 v12, vcc_lo, s7, v2, vcc_lo
	global_load_b32 v0, v[7:8], off
	global_load_b32 v9, v[9:10], off
	;; [unrolled: 1-line block ×3, first 2 shown]
	s_add_i32 s6, s1, s4
	s_add_i32 s19, s19, -1
	s_ashr_i32 s7, s6, 31
	s_sub_i32 s4, s4, s18
	s_lshl_b64 s[6:7], s[6:7], 2
	s_sub_i32 s2, s2, s17
	v_add_co_u32 v7, vcc_lo, v1, s6
	v_add_co_ci_u32_e32 v8, vcc_lo, s7, v2, vcc_lo
	s_cmp_lg_u32 s19, 0
	s_waitcnt vmcnt(0)
	v_fma_f32 v0, -v9, v10, v0
	global_store_b32 v[7:8], v0, off
	s_cbranch_scc1 .LBB0_8
.LBB0_9:
	s_set_inst_prefetch_distance 0x2
	s_nop 0
	s_sendmsg sendmsg(MSG_DEALLOC_VGPRS)
	s_endpgm
	.section	.rodata,"a",@progbits
	.p2align	6, 0x0
	.amdhsa_kernel _ZN9rocsparseL36gtsv_interleaved_batch_thomas_kernelILj128EfEEviiiPKT0_S3_S3_PS1_S4_S4_
		.amdhsa_group_segment_fixed_size 0
		.amdhsa_private_segment_fixed_size 0
		.amdhsa_kernarg_size 64
		.amdhsa_user_sgpr_count 15
		.amdhsa_user_sgpr_dispatch_ptr 0
		.amdhsa_user_sgpr_queue_ptr 0
		.amdhsa_user_sgpr_kernarg_segment_ptr 1
		.amdhsa_user_sgpr_dispatch_id 0
		.amdhsa_user_sgpr_private_segment_size 0
		.amdhsa_wavefront_size32 1
		.amdhsa_uses_dynamic_stack 0
		.amdhsa_enable_private_segment 0
		.amdhsa_system_sgpr_workgroup_id_x 1
		.amdhsa_system_sgpr_workgroup_id_y 0
		.amdhsa_system_sgpr_workgroup_id_z 0
		.amdhsa_system_sgpr_workgroup_info 0
		.amdhsa_system_vgpr_workitem_id 0
		.amdhsa_next_free_vgpr 27
		.amdhsa_next_free_sgpr 28
		.amdhsa_reserve_vcc 1
		.amdhsa_float_round_mode_32 0
		.amdhsa_float_round_mode_16_64 0
		.amdhsa_float_denorm_mode_32 3
		.amdhsa_float_denorm_mode_16_64 3
		.amdhsa_dx10_clamp 1
		.amdhsa_ieee_mode 1
		.amdhsa_fp16_overflow 0
		.amdhsa_workgroup_processor_mode 1
		.amdhsa_memory_ordered 1
		.amdhsa_forward_progress 0
		.amdhsa_shared_vgpr_count 0
		.amdhsa_exception_fp_ieee_invalid_op 0
		.amdhsa_exception_fp_denorm_src 0
		.amdhsa_exception_fp_ieee_div_zero 0
		.amdhsa_exception_fp_ieee_overflow 0
		.amdhsa_exception_fp_ieee_underflow 0
		.amdhsa_exception_fp_ieee_inexact 0
		.amdhsa_exception_int_div_zero 0
	.end_amdhsa_kernel
	.section	.text._ZN9rocsparseL36gtsv_interleaved_batch_thomas_kernelILj128EfEEviiiPKT0_S3_S3_PS1_S4_S4_,"axG",@progbits,_ZN9rocsparseL36gtsv_interleaved_batch_thomas_kernelILj128EfEEviiiPKT0_S3_S3_PS1_S4_S4_,comdat
.Lfunc_end0:
	.size	_ZN9rocsparseL36gtsv_interleaved_batch_thomas_kernelILj128EfEEviiiPKT0_S3_S3_PS1_S4_S4_, .Lfunc_end0-_ZN9rocsparseL36gtsv_interleaved_batch_thomas_kernelILj128EfEEviiiPKT0_S3_S3_PS1_S4_S4_
                                        ; -- End function
	.section	.AMDGPU.csdata,"",@progbits
; Kernel info:
; codeLenInByte = 1228
; NumSgprs: 30
; NumVgprs: 27
; ScratchSize: 0
; MemoryBound: 0
; FloatMode: 240
; IeeeMode: 1
; LDSByteSize: 0 bytes/workgroup (compile time only)
; SGPRBlocks: 3
; VGPRBlocks: 3
; NumSGPRsForWavesPerEU: 30
; NumVGPRsForWavesPerEU: 27
; Occupancy: 16
; WaveLimiterHint : 0
; COMPUTE_PGM_RSRC2:SCRATCH_EN: 0
; COMPUTE_PGM_RSRC2:USER_SGPR: 15
; COMPUTE_PGM_RSRC2:TRAP_HANDLER: 0
; COMPUTE_PGM_RSRC2:TGID_X_EN: 1
; COMPUTE_PGM_RSRC2:TGID_Y_EN: 0
; COMPUTE_PGM_RSRC2:TGID_Z_EN: 0
; COMPUTE_PGM_RSRC2:TIDIG_COMP_CNT: 0
	.section	.text._ZN9rocsparseL32gtsv_interleaved_batch_lu_kernelILj128EfEEviiiPT0_S2_S2_S2_PiS2_,"axG",@progbits,_ZN9rocsparseL32gtsv_interleaved_batch_lu_kernelILj128EfEEviiiPT0_S2_S2_S2_PiS2_,comdat
	.globl	_ZN9rocsparseL32gtsv_interleaved_batch_lu_kernelILj128EfEEviiiPT0_S2_S2_S2_PiS2_ ; -- Begin function _ZN9rocsparseL32gtsv_interleaved_batch_lu_kernelILj128EfEEviiiPT0_S2_S2_S2_PiS2_
	.p2align	8
	.type	_ZN9rocsparseL32gtsv_interleaved_batch_lu_kernelILj128EfEEviiiPT0_S2_S2_S2_PiS2_,@function
_ZN9rocsparseL32gtsv_interleaved_batch_lu_kernelILj128EfEEviiiPT0_S2_S2_S2_PiS2_: ; @_ZN9rocsparseL32gtsv_interleaved_batch_lu_kernelILj128EfEEviiiPT0_S2_S2_S2_PiS2_
; %bb.0:
	s_load_b128 s[16:19], s[0:1], 0x0
	s_lshl_b32 s12, s15, 7
	s_mov_b32 s2, exec_lo
	v_or_b32_e32 v1, s12, v0
	s_waitcnt lgkmcnt(0)
	s_delay_alu instid0(VALU_DEP_1)
	v_cmpx_gt_i32_e64 s17, v1
	s_cbranch_execz .LBB1_19
; %bb.1:
	s_clause 0x1
	s_load_b256 s[4:11], s[0:1], 0x18
	s_load_b64 s[2:3], s[0:1], 0x38
	v_ashrrev_i32_e32 v2, 31, v1
	v_mov_b32_e32 v4, 0
	s_add_i32 s13, s16, -1
	s_cmp_lt_i32 s16, 2
	s_delay_alu instid0(VALU_DEP_2) | instskip(SKIP_1) | instid1(VALU_DEP_1)
	v_lshlrev_b64 v[2:3], 2, v[1:2]
	s_waitcnt lgkmcnt(0)
	v_add_co_u32 v2, vcc_lo, s10, v2
	s_delay_alu instid0(VALU_DEP_2)
	v_add_co_ci_u32_e32 v3, vcc_lo, s11, v3, vcc_lo
	global_store_b32 v[2:3], v4, off
	s_cbranch_scc1 .LBB1_16
; %bb.2:
	s_load_b64 s[0:1], s[0:1], 0x10
	s_mov_b32 s15, 0
	s_branch .LBB1_4
.LBB1_3:                                ;   in Loop: Header=BB1_4 Depth=1
	s_or_b32 exec_lo, exec_lo, s19
	s_cmp_eq_u32 s14, s13
	s_mov_b32 s15, s14
	s_cbranch_scc1 .LBB1_8
.LBB1_4:                                ; =>This Inner Loop Header: Depth=1
	v_mad_u64_u32 v[4:5], null, s15, s18, v[1:2]
	s_add_i32 s14, s15, 1
	s_mov_b32 s19, exec_lo
	s_delay_alu instid0(VALU_DEP_1) | instskip(SKIP_1) | instid1(VALU_DEP_2)
	v_add_nc_u32_e32 v6, s18, v4
	v_ashrrev_i32_e32 v5, 31, v4
	v_ashrrev_i32_e32 v7, 31, v6
	s_delay_alu instid0(VALU_DEP_2) | instskip(NEXT) | instid1(VALU_DEP_2)
	v_lshlrev_b64 v[8:9], 2, v[4:5]
	v_lshlrev_b64 v[6:7], 2, v[6:7]
	s_delay_alu instid0(VALU_DEP_2) | instskip(NEXT) | instid1(VALU_DEP_3)
	v_add_co_u32 v10, vcc_lo, s4, v8
	v_add_co_ci_u32_e32 v11, vcc_lo, s5, v9, vcc_lo
	s_waitcnt lgkmcnt(0)
	s_delay_alu instid0(VALU_DEP_3) | instskip(NEXT) | instid1(VALU_DEP_4)
	v_add_co_u32 v4, vcc_lo, s0, v6
	v_add_co_ci_u32_e32 v5, vcc_lo, s1, v7, vcc_lo
	global_load_b32 v13, v[10:11], off
	global_load_b32 v12, v[4:5], off
	s_waitcnt vmcnt(1)
	v_cmp_gt_f32_e32 vcc_lo, 0, v13
	v_cndmask_b32_e64 v14, v13, -v13, vcc_lo
	s_waitcnt vmcnt(0)
	v_cmp_gt_f32_e32 vcc_lo, 0, v12
	v_cndmask_b32_e64 v15, v12, -v12, vcc_lo
	s_delay_alu instid0(VALU_DEP_1)
	v_cmpx_nlt_f32_e32 v14, v15
	s_xor_b32 s19, exec_lo, s19
	s_cbranch_execnz .LBB1_6
; %bb.5:                                ;   in Loop: Header=BB1_4 Depth=1
	s_and_not1_saveexec_b32 s19, s19
	s_cbranch_execz .LBB1_3
	s_branch .LBB1_7
.LBB1_6:                                ;   in Loop: Header=BB1_4 Depth=1
	v_mad_u64_u32 v[10:11], null, s15, s17, v[1:2]
	v_add_co_u32 v14, vcc_lo, s4, v6
	v_add_co_ci_u32_e32 v15, vcc_lo, s5, v7, vcc_lo
	v_add_co_u32 v8, vcc_lo, s6, v8
	s_delay_alu instid0(VALU_DEP_4) | instskip(SKIP_2) | instid1(VALU_DEP_3)
	v_ashrrev_i32_e32 v11, 31, v10
	v_add_co_ci_u32_e32 v9, vcc_lo, s7, v9, vcc_lo
	v_add_co_u32 v6, vcc_lo, s6, v6
	v_lshlrev_b64 v[10:11], 2, v[10:11]
	v_add_co_ci_u32_e32 v7, vcc_lo, s7, v7, vcc_lo
	s_mul_i32 s20, s14, s17
	s_delay_alu instid0(SALU_CYCLE_1) | instskip(NEXT) | instid1(VALU_DEP_2)
	s_ashr_i32 s21, s20, 31
	v_add_co_u32 v10, vcc_lo, s8, v10
	s_delay_alu instid0(VALU_DEP_3)
	v_add_co_ci_u32_e32 v11, vcc_lo, s9, v11, vcc_lo
	global_load_b32 v16, v[14:15], off
	s_clause 0x1
	global_load_b32 v17, v[8:9], off
	global_load_b32 v18, v[6:7], off
	;; [unrolled: 1-line block ×3, first 2 shown]
	v_div_scale_f32 v8, null, v13, v13, v12
	s_lshl_b64 s[20:21], s[20:21], 2
	s_delay_alu instid0(VALU_DEP_1) | instskip(SKIP_2) | instid1(VALU_DEP_1)
	v_rcp_f32_e32 v9, v8
	s_waitcnt_depctr 0xfff
	v_fma_f32 v11, -v8, v9, 1.0
	v_fmac_f32_e32 v9, v11, v9
	v_div_scale_f32 v11, vcc_lo, v12, v13, v12
	s_delay_alu instid0(VALU_DEP_1) | instskip(NEXT) | instid1(VALU_DEP_1)
	v_mul_f32_e32 v19, v11, v9
	v_fma_f32 v20, -v8, v19, v11
	s_delay_alu instid0(VALU_DEP_1) | instskip(NEXT) | instid1(VALU_DEP_1)
	v_fmac_f32_e32 v19, v20, v9
	v_fma_f32 v8, -v8, v19, v11
	s_delay_alu instid0(VALU_DEP_1) | instskip(NEXT) | instid1(VALU_DEP_1)
	v_div_fmas_f32 v8, v8, v9, v19
	v_div_fixup_f32 v11, v8, v13, v12
	v_mov_b32_e32 v12, s14
	v_add_co_u32 v8, vcc_lo, v2, s20
	v_add_co_ci_u32_e32 v9, vcc_lo, s21, v3, vcc_lo
	s_waitcnt vmcnt(2)
	v_fma_f32 v13, -v11, v17, v16
	s_waitcnt vmcnt(0)
	v_fma_f32 v10, -v11, v10, v18
	global_store_b32 v[8:9], v12, off
	global_store_b32 v[4:5], v11, off
	;; [unrolled: 1-line block ×4, first 2 shown]
                                        ; implicit-def: $vgpr6_vgpr7
                                        ; implicit-def: $vgpr8_vgpr9
                                        ; implicit-def: $vgpr10_vgpr11
                                        ; implicit-def: $vgpr12
                                        ; implicit-def: $vgpr13
                                        ; implicit-def: $vgpr4_vgpr5
	s_and_not1_saveexec_b32 s19, s19
	s_cbranch_execz .LBB1_3
.LBB1_7:                                ;   in Loop: Header=BB1_4 Depth=1
	s_mul_i32 s20, s15, s17
	v_add_co_u32 v17, vcc_lo, s4, v6
	v_add_nc_u32_e32 v14, s20, v1
	v_add_co_ci_u32_e32 v18, vcc_lo, s5, v7, vcc_lo
	s_ashr_i32 s21, s20, 31
	s_delay_alu instid0(VALU_DEP_2) | instskip(SKIP_1) | instid1(VALU_DEP_1)
	v_ashrrev_i32_e32 v15, 31, v14
	s_lshl_b64 s[20:21], s[20:21], 2
	v_lshlrev_b64 v[15:16], 2, v[14:15]
	s_delay_alu instid0(VALU_DEP_1) | instskip(NEXT) | instid1(VALU_DEP_2)
	v_add_co_u32 v15, vcc_lo, s8, v15
	v_add_co_ci_u32_e32 v16, vcc_lo, s9, v16, vcc_lo
	v_add_co_u32 v19, vcc_lo, s6, v8
	global_load_b32 v25, v[17:18], off
	global_load_b32 v26, v[15:16], off
	v_add_co_ci_u32_e32 v20, vcc_lo, s7, v9, vcc_lo
	v_add_co_u32 v21, vcc_lo, s6, v6
	v_add_co_ci_u32_e32 v22, vcc_lo, s7, v7, vcc_lo
	v_add_co_u32 v8, vcc_lo, s2, v8
	v_add_co_ci_u32_e32 v9, vcc_lo, s3, v9, vcc_lo
	v_add_co_u32 v6, vcc_lo, s2, v6
	v_add_co_ci_u32_e32 v7, vcc_lo, s3, v7, vcc_lo
	v_add_co_u32 v23, vcc_lo, v2, s20
	s_clause 0x1
	global_load_b32 v27, v[19:20], off
	global_load_b32 v28, v[21:22], off
	v_add_co_ci_u32_e32 v24, vcc_lo, s21, v3, vcc_lo
	v_div_scale_f32 v33, vcc_lo, v13, v12, v13
	s_waitcnt vmcnt(3)
	global_store_b32 v[19:20], v25, off
	s_waitcnt vmcnt(2)
	global_store_b32 v[21:22], v26, off
	global_load_b32 v25, v[19:20], off
	s_clause 0x1
	global_load_b32 v29, v[6:7], off
	global_load_b32 v30, v[8:9], off
	;; [unrolled: 1-line block ×3, first 2 shown]
	v_div_scale_f32 v20, null, v12, v12, v13
	s_delay_alu instid0(VALU_DEP_1) | instskip(SKIP_2) | instid1(VALU_DEP_1)
	v_rcp_f32_e32 v32, v20
	s_waitcnt_depctr 0xfff
	v_fma_f32 v19, -v20, v32, 1.0
	v_fmac_f32_e32 v32, v19, v32
	s_delay_alu instid0(VALU_DEP_1) | instskip(NEXT) | instid1(VALU_DEP_1)
	v_mul_f32_e32 v34, v33, v32
	v_fma_f32 v19, -v20, v34, v33
	s_delay_alu instid0(VALU_DEP_1) | instskip(NEXT) | instid1(VALU_DEP_1)
	v_dual_fmac_f32 v34, v19, v32 :: v_dual_add_nc_u32 v19, s17, v14
	v_fma_f32 v14, -v20, v34, v33
	s_delay_alu instid0(VALU_DEP_2)
	v_ashrrev_i32_e32 v20, 31, v19
	v_mov_b32_e32 v33, s14
	global_store_b32 v[10:11], v12, off
	global_store_b32 v[23:24], v33, off
	v_div_fmas_f32 v14, v14, v32, v34
	v_lshlrev_b64 v[19:20], 2, v[19:20]
	s_delay_alu instid0(VALU_DEP_2)
	v_div_fixup_f32 v12, v14, v12, v13
	global_store_b32 v[4:5], v12, off
	s_waitcnt vmcnt(4)
	global_store_b32 v[15:16], v28, off
	v_add_co_u32 v10, vcc_lo, s10, v19
	v_add_co_ci_u32_e32 v11, vcc_lo, s11, v20, vcc_lo
	v_fma_f32 v5, -v12, v28, v26
	s_waitcnt vmcnt(3)
	v_fma_f32 v4, -v12, v25, v27
	s_waitcnt vmcnt(2)
	global_store_b32 v[8:9], v29, off
	s_waitcnt vmcnt(1)
	global_store_b32 v[6:7], v30, off
	;; [unrolled: 2-line block ×3, first 2 shown]
	global_store_b32 v[17:18], v4, off
	global_store_b32 v[21:22], v5, off
	s_branch .LBB1_3
.LBB1_8:
	v_mov_b32_e32 v4, 0
	s_mov_b32 s10, 1
	s_branch .LBB1_11
.LBB1_9:                                ;   in Loop: Header=BB1_11 Depth=1
	s_or_b32 exec_lo, exec_lo, s14
	v_mad_u64_u32 v[6:7], null, s10, s18, v[1:2]
	s_delay_alu instid0(VALU_DEP_1) | instskip(NEXT) | instid1(VALU_DEP_1)
	v_ashrrev_i32_e32 v7, 31, v6
	v_lshlrev_b64 v[6:7], 2, v[6:7]
	s_delay_alu instid0(VALU_DEP_1) | instskip(NEXT) | instid1(VALU_DEP_2)
	v_add_co_u32 v6, vcc_lo, s2, v6
	v_add_co_ci_u32_e32 v7, vcc_lo, s3, v7, vcc_lo
	global_load_b32 v4, v[6:7], off
	s_waitcnt vmcnt(0)
	v_dual_add_f32 v5, v5, v4 :: v_dual_mov_b32 v4, s10
	global_store_b32 v[6:7], v5, off
.LBB1_10:                               ;   in Loop: Header=BB1_11 Depth=1
	s_or_b32 exec_lo, exec_lo, s11
	s_add_i32 s10, s10, 1
	s_delay_alu instid0(SALU_CYCLE_1)
	s_cmp_eq_u32 s10, s16
	s_cbranch_scc1 .LBB1_16
.LBB1_11:                               ; =>This Loop Header: Depth=1
                                        ;     Child Loop BB1_14 Depth 2
	s_mul_i32 s14, s10, s17
	s_mov_b32 s11, exec_lo
	s_ashr_i32 s15, s14, 31
	s_delay_alu instid0(SALU_CYCLE_1) | instskip(NEXT) | instid1(SALU_CYCLE_1)
	s_lshl_b64 s[14:15], s[14:15], 2
	v_add_co_u32 v5, vcc_lo, v2, s14
	v_add_co_ci_u32_e32 v6, vcc_lo, s15, v3, vcc_lo
	global_load_b32 v5, v[5:6], off
	s_waitcnt vmcnt(0)
	v_cmpx_ge_i32_e64 s10, v5
	s_cbranch_execz .LBB1_10
; %bb.12:                               ;   in Loop: Header=BB1_11 Depth=1
	v_mov_b32_e32 v5, 0
	s_mov_b32 s14, exec_lo
	v_cmpx_gt_i32_e64 s10, v4
	s_cbranch_execz .LBB1_9
; %bb.13:                               ;   in Loop: Header=BB1_11 Depth=1
	v_mul_lo_u32 v6, s18, v4
	v_dual_mov_b32 v5, 0 :: v_dual_mov_b32 v8, v1
	s_mov_b32 s15, 0
	s_delay_alu instid0(VALU_DEP_2)
	v_add_nc_u32_e32 v7, s18, v6
	.p2align	6
.LBB1_14:                               ;   Parent Loop BB1_11 Depth=1
                                        ; =>  This Inner Loop Header: Depth=2
	s_delay_alu instid0(VALU_DEP_1) | instskip(SKIP_3) | instid1(VALU_DEP_4)
	v_add_nc_u32_e32 v9, v7, v8
	v_add_nc_u32_e32 v11, v6, v8
	;; [unrolled: 1-line block ×4, first 2 shown]
	v_ashrrev_i32_e32 v10, 31, v9
	s_delay_alu instid0(VALU_DEP_4) | instskip(NEXT) | instid1(VALU_DEP_2)
	v_ashrrev_i32_e32 v12, 31, v11
	v_lshlrev_b64 v[9:10], 2, v[9:10]
	s_delay_alu instid0(VALU_DEP_2) | instskip(NEXT) | instid1(VALU_DEP_2)
	v_lshlrev_b64 v[11:12], 2, v[11:12]
	v_add_co_u32 v9, vcc_lo, s0, v9
	s_delay_alu instid0(VALU_DEP_3) | instskip(NEXT) | instid1(VALU_DEP_3)
	v_add_co_ci_u32_e32 v10, vcc_lo, s1, v10, vcc_lo
	v_add_co_u32 v11, vcc_lo, s2, v11
	s_delay_alu instid0(VALU_DEP_4)
	v_add_co_ci_u32_e32 v12, vcc_lo, s3, v12, vcc_lo
	v_cmp_le_i32_e32 vcc_lo, s10, v4
	global_load_b32 v9, v[9:10], off
	global_load_b32 v10, v[11:12], off
	s_or_b32 s15, vcc_lo, s15
	s_waitcnt vmcnt(0)
	v_fma_f32 v5, -v9, v10, v5
	s_and_not1_b32 exec_lo, exec_lo, s15
	s_cbranch_execnz .LBB1_14
; %bb.15:                               ;   in Loop: Header=BB1_11 Depth=1
	s_or_b32 exec_lo, exec_lo, s15
	s_branch .LBB1_9
.LBB1_16:
	s_mul_i32 s13, s13, s18
	s_delay_alu instid0(SALU_CYCLE_1) | instskip(SKIP_2) | instid1(VALU_DEP_1)
	v_add_nc_u32_e32 v2, s13, v1
	s_sub_i32 s0, s13, s18
	s_cmp_lt_i32 s16, 3
	v_ashrrev_i32_e32 v3, 31, v2
	s_delay_alu instid0(VALU_DEP_1) | instskip(NEXT) | instid1(VALU_DEP_1)
	v_lshlrev_b64 v[2:3], 2, v[2:3]
	v_add_co_u32 v4, vcc_lo, s2, v2
	s_delay_alu instid0(VALU_DEP_2)
	v_add_co_ci_u32_e32 v5, vcc_lo, s3, v3, vcc_lo
	v_add_co_u32 v2, vcc_lo, s4, v2
	v_add_co_ci_u32_e32 v3, vcc_lo, s5, v3, vcc_lo
	global_load_b32 v10, v[4:5], off
	global_load_b32 v11, v[2:3], off
	s_waitcnt vmcnt(0)
	v_div_scale_f32 v6, null, v11, v11, v10
	v_div_scale_f32 v7, vcc_lo, v10, v11, v10
	s_delay_alu instid0(VALU_DEP_2) | instskip(SKIP_2) | instid1(VALU_DEP_1)
	v_rcp_f32_e32 v8, v6
	s_waitcnt_depctr 0xfff
	v_fma_f32 v2, -v6, v8, 1.0
	v_fmac_f32_e32 v8, v2, v8
	s_delay_alu instid0(VALU_DEP_1) | instskip(NEXT) | instid1(VALU_DEP_1)
	v_mul_f32_e32 v9, v7, v8
	v_fma_f32 v12, -v6, v9, v7
	s_delay_alu instid0(VALU_DEP_1) | instskip(NEXT) | instid1(VALU_DEP_1)
	v_dual_fmac_f32 v9, v12, v8 :: v_dual_add_nc_u32 v2, s0, v1
	v_ashrrev_i32_e32 v3, 31, v2
	s_delay_alu instid0(VALU_DEP_2) | instskip(NEXT) | instid1(VALU_DEP_2)
	v_fma_f32 v12, -v6, v9, v7
	v_lshlrev_b64 v[2:3], 2, v[2:3]
	s_delay_alu instid0(VALU_DEP_2) | instskip(NEXT) | instid1(VALU_DEP_2)
	v_div_fmas_f32 v12, v12, v8, v9
	v_add_co_u32 v8, vcc_lo, s6, v2
	v_add_co_u32 v6, s0, s2, v2
	s_delay_alu instid0(VALU_DEP_4) | instskip(NEXT) | instid1(VALU_DEP_4)
	v_add_co_ci_u32_e32 v9, vcc_lo, s7, v3, vcc_lo
	v_div_fixup_f32 v10, v12, v11, v10
	v_add_co_u32 v2, vcc_lo, s4, v2
	v_add_co_ci_u32_e64 v7, s0, s3, v3, s0
	v_add_co_ci_u32_e32 v3, vcc_lo, s5, v3, vcc_lo
	global_load_b32 v8, v[8:9], off
	global_store_b32 v[4:5], v10, off
	global_load_b32 v4, v[6:7], off
	global_load_b32 v2, v[2:3], off
	s_waitcnt vmcnt(1)
	v_fma_f32 v3, -v10, v8, v4
	s_waitcnt vmcnt(0)
	s_delay_alu instid0(VALU_DEP_1) | instskip(NEXT) | instid1(VALU_DEP_1)
	v_div_scale_f32 v4, null, v2, v2, v3
	v_rcp_f32_e32 v5, v4
	s_waitcnt_depctr 0xfff
	v_fma_f32 v8, -v4, v5, 1.0
	s_delay_alu instid0(VALU_DEP_1) | instskip(SKIP_1) | instid1(VALU_DEP_1)
	v_fmac_f32_e32 v5, v8, v5
	v_div_scale_f32 v8, vcc_lo, v3, v2, v3
	v_mul_f32_e32 v9, v8, v5
	s_delay_alu instid0(VALU_DEP_1) | instskip(NEXT) | instid1(VALU_DEP_1)
	v_fma_f32 v10, -v4, v9, v8
	v_fmac_f32_e32 v9, v10, v5
	s_delay_alu instid0(VALU_DEP_1) | instskip(NEXT) | instid1(VALU_DEP_1)
	v_fma_f32 v4, -v4, v9, v8
	v_div_fmas_f32 v4, v4, v5, v9
	s_delay_alu instid0(VALU_DEP_1)
	v_div_fixup_f32 v2, v4, v2, v3
	global_store_b32 v[6:7], v2, off
	s_cbranch_scc1 .LBB1_19
; %bb.17:
	s_add_i32 s10, s16, -3
	s_add_i32 s0, s16, -2
	s_mul_i32 s1, s17, s10
	s_mul_i32 s10, s18, s10
	v_add3_u32 v2, s12, s1, v0
	s_mul_i32 s1, s18, s0
.LBB1_18:                               ; =>This Inner Loop Header: Depth=1
	v_add_nc_u32_e32 v4, s10, v1
	s_delay_alu instid0(VALU_DEP_2)
	v_ashrrev_i32_e32 v3, 31, v2
	v_add_nc_u32_e32 v6, s1, v1
	v_add_nc_u32_e32 v8, s13, v1
	v_subrev_nc_u32_e32 v1, s18, v1
	v_ashrrev_i32_e32 v5, 31, v4
	v_lshlrev_b64 v[10:11], 2, v[2:3]
	v_ashrrev_i32_e32 v7, 31, v6
	v_ashrrev_i32_e32 v9, 31, v8
	v_subrev_nc_u32_e32 v2, s17, v2
	v_lshlrev_b64 v[3:4], 2, v[4:5]
	s_add_i32 s0, s0, -1
	v_lshlrev_b64 v[5:6], 2, v[6:7]
	v_lshlrev_b64 v[7:8], 2, v[8:9]
	v_add_co_u32 v9, vcc_lo, s8, v10
	v_add_co_ci_u32_e32 v10, vcc_lo, s9, v11, vcc_lo
	v_add_co_u32 v11, vcc_lo, s2, v3
	v_add_co_ci_u32_e32 v12, vcc_lo, s3, v4, vcc_lo
	;; [unrolled: 2-line block ×5, first 2 shown]
	global_load_b32 v0, v[9:10], off
	global_load_b32 v9, v[11:12], off
	;; [unrolled: 1-line block ×4, first 2 shown]
	v_add_co_u32 v3, vcc_lo, s4, v3
	v_add_co_ci_u32_e32 v4, vcc_lo, s5, v4, vcc_lo
	global_load_b32 v6, v[7:8], off
	global_load_b32 v3, v[3:4], off
	s_cmp_lg_u32 s0, 0
	s_waitcnt vmcnt(2)
	v_fma_f32 v4, -v10, v5, v9
	s_waitcnt vmcnt(1)
	s_delay_alu instid0(VALU_DEP_1) | instskip(SKIP_1) | instid1(VALU_DEP_1)
	v_fma_f32 v0, -v0, v6, v4
	s_waitcnt vmcnt(0)
	v_div_scale_f32 v4, null, v3, v3, v0
	v_div_scale_f32 v7, vcc_lo, v0, v3, v0
	s_delay_alu instid0(VALU_DEP_2) | instskip(SKIP_2) | instid1(VALU_DEP_1)
	v_rcp_f32_e32 v5, v4
	s_waitcnt_depctr 0xfff
	v_fma_f32 v6, -v4, v5, 1.0
	v_fmac_f32_e32 v5, v6, v5
	s_delay_alu instid0(VALU_DEP_1) | instskip(NEXT) | instid1(VALU_DEP_1)
	v_mul_f32_e32 v6, v7, v5
	v_fma_f32 v8, -v4, v6, v7
	s_delay_alu instid0(VALU_DEP_1) | instskip(NEXT) | instid1(VALU_DEP_1)
	v_fmac_f32_e32 v6, v8, v5
	v_fma_f32 v4, -v4, v6, v7
	s_delay_alu instid0(VALU_DEP_1) | instskip(NEXT) | instid1(VALU_DEP_1)
	v_div_fmas_f32 v4, v4, v5, v6
	v_div_fixup_f32 v0, v4, v3, v0
	global_store_b32 v[11:12], v0, off
	s_cbranch_scc1 .LBB1_18
.LBB1_19:
	s_nop 0
	s_sendmsg sendmsg(MSG_DEALLOC_VGPRS)
	s_endpgm
	.section	.rodata,"a",@progbits
	.p2align	6, 0x0
	.amdhsa_kernel _ZN9rocsparseL32gtsv_interleaved_batch_lu_kernelILj128EfEEviiiPT0_S2_S2_S2_PiS2_
		.amdhsa_group_segment_fixed_size 0
		.amdhsa_private_segment_fixed_size 0
		.amdhsa_kernarg_size 64
		.amdhsa_user_sgpr_count 15
		.amdhsa_user_sgpr_dispatch_ptr 0
		.amdhsa_user_sgpr_queue_ptr 0
		.amdhsa_user_sgpr_kernarg_segment_ptr 1
		.amdhsa_user_sgpr_dispatch_id 0
		.amdhsa_user_sgpr_private_segment_size 0
		.amdhsa_wavefront_size32 1
		.amdhsa_uses_dynamic_stack 0
		.amdhsa_enable_private_segment 0
		.amdhsa_system_sgpr_workgroup_id_x 1
		.amdhsa_system_sgpr_workgroup_id_y 0
		.amdhsa_system_sgpr_workgroup_id_z 0
		.amdhsa_system_sgpr_workgroup_info 0
		.amdhsa_system_vgpr_workitem_id 0
		.amdhsa_next_free_vgpr 35
		.amdhsa_next_free_sgpr 22
		.amdhsa_reserve_vcc 1
		.amdhsa_float_round_mode_32 0
		.amdhsa_float_round_mode_16_64 0
		.amdhsa_float_denorm_mode_32 3
		.amdhsa_float_denorm_mode_16_64 3
		.amdhsa_dx10_clamp 1
		.amdhsa_ieee_mode 1
		.amdhsa_fp16_overflow 0
		.amdhsa_workgroup_processor_mode 1
		.amdhsa_memory_ordered 1
		.amdhsa_forward_progress 0
		.amdhsa_shared_vgpr_count 0
		.amdhsa_exception_fp_ieee_invalid_op 0
		.amdhsa_exception_fp_denorm_src 0
		.amdhsa_exception_fp_ieee_div_zero 0
		.amdhsa_exception_fp_ieee_overflow 0
		.amdhsa_exception_fp_ieee_underflow 0
		.amdhsa_exception_fp_ieee_inexact 0
		.amdhsa_exception_int_div_zero 0
	.end_amdhsa_kernel
	.section	.text._ZN9rocsparseL32gtsv_interleaved_batch_lu_kernelILj128EfEEviiiPT0_S2_S2_S2_PiS2_,"axG",@progbits,_ZN9rocsparseL32gtsv_interleaved_batch_lu_kernelILj128EfEEviiiPT0_S2_S2_S2_PiS2_,comdat
.Lfunc_end1:
	.size	_ZN9rocsparseL32gtsv_interleaved_batch_lu_kernelILj128EfEEviiiPT0_S2_S2_S2_PiS2_, .Lfunc_end1-_ZN9rocsparseL32gtsv_interleaved_batch_lu_kernelILj128EfEEviiiPT0_S2_S2_S2_PiS2_
                                        ; -- End function
	.section	.AMDGPU.csdata,"",@progbits
; Kernel info:
; codeLenInByte = 2188
; NumSgprs: 24
; NumVgprs: 35
; ScratchSize: 0
; MemoryBound: 0
; FloatMode: 240
; IeeeMode: 1
; LDSByteSize: 0 bytes/workgroup (compile time only)
; SGPRBlocks: 2
; VGPRBlocks: 4
; NumSGPRsForWavesPerEU: 24
; NumVGPRsForWavesPerEU: 35
; Occupancy: 16
; WaveLimiterHint : 0
; COMPUTE_PGM_RSRC2:SCRATCH_EN: 0
; COMPUTE_PGM_RSRC2:USER_SGPR: 15
; COMPUTE_PGM_RSRC2:TRAP_HANDLER: 0
; COMPUTE_PGM_RSRC2:TGID_X_EN: 1
; COMPUTE_PGM_RSRC2:TGID_Y_EN: 0
; COMPUTE_PGM_RSRC2:TGID_Z_EN: 0
; COMPUTE_PGM_RSRC2:TIDIG_COMP_CNT: 0
	.section	.text._ZN9rocsparseL32gtsv_interleaved_batch_qr_kernelILj128EfEEviiiPKT0_PS1_S4_S4_S4_,"axG",@progbits,_ZN9rocsparseL32gtsv_interleaved_batch_qr_kernelILj128EfEEviiiPKT0_PS1_S4_S4_S4_,comdat
	.globl	_ZN9rocsparseL32gtsv_interleaved_batch_qr_kernelILj128EfEEviiiPKT0_PS1_S4_S4_S4_ ; -- Begin function _ZN9rocsparseL32gtsv_interleaved_batch_qr_kernelILj128EfEEviiiPKT0_PS1_S4_S4_S4_
	.p2align	8
	.type	_ZN9rocsparseL32gtsv_interleaved_batch_qr_kernelILj128EfEEviiiPKT0_PS1_S4_S4_S4_,@function
_ZN9rocsparseL32gtsv_interleaved_batch_qr_kernelILj128EfEEviiiPKT0_PS1_S4_S4_S4_: ; @_ZN9rocsparseL32gtsv_interleaved_batch_qr_kernelILj128EfEEviiiPKT0_PS1_S4_S4_S4_
; %bb.0:
	s_load_b128 s[16:19], s[0:1], 0x0
	s_lshl_b32 s12, s15, 7
	s_mov_b32 s2, exec_lo
	v_or_b32_e32 v1, s12, v0
	s_waitcnt lgkmcnt(0)
	s_delay_alu instid0(VALU_DEP_1)
	v_cmpx_gt_i32_e64 s17, v1
	s_cbranch_execz .LBB2_7
; %bb.1:
	s_load_b256 s[4:11], s[0:1], 0x18
	s_add_i32 s13, s16, -1
	s_cmp_lt_i32 s16, 2
	s_cbranch_scc1 .LBB2_4
; %bb.2:
	v_ashrrev_i32_e32 v2, 31, v1
	s_load_b64 s[2:3], s[0:1], 0x10
	s_mov_b32 s1, s13
	s_delay_alu instid0(VALU_DEP_1) | instskip(SKIP_1) | instid1(VALU_DEP_1)
	v_lshlrev_b64 v[2:3], 2, v[1:2]
	s_waitcnt lgkmcnt(0)
	v_add_co_u32 v4, vcc_lo, s4, v2
	s_delay_alu instid0(VALU_DEP_2)
	v_add_co_ci_u32_e32 v5, vcc_lo, s5, v3, vcc_lo
	v_add_co_u32 v7, vcc_lo, s6, v2
	v_add_co_ci_u32_e32 v8, vcc_lo, s7, v3, vcc_lo
	v_add_co_u32 v2, vcc_lo, s10, v2
	v_add_co_ci_u32_e32 v3, vcc_lo, s11, v3, vcc_lo
	global_load_b32 v6, v[4:5], off
	global_load_b32 v7, v[7:8], off
	;; [unrolled: 1-line block ×3, first 2 shown]
	v_mov_b32_e32 v4, v1
	v_mov_b32_e32 v2, v1
.LBB2_3:                                ; =>This Inner Loop Header: Depth=1
	s_waitcnt vmcnt(2)
	s_delay_alu instid0(VALU_DEP_2) | instskip(SKIP_1) | instid1(VALU_DEP_3)
	v_dual_mul_f32 v28, v6, v6 :: v_dual_add_nc_u32 v9, s18, v4
	v_ashrrev_i32_e32 v5, 31, v4
	v_ashrrev_i32_e32 v3, 31, v2
	s_add_i32 s1, s1, -1
	s_delay_alu instid0(VALU_DEP_3) | instskip(SKIP_3) | instid1(VALU_DEP_3)
	v_ashrrev_i32_e32 v10, 31, v9
	s_cmp_eq_u32 s1, 0
	v_lshlrev_b64 v[16:17], 2, v[4:5]
	v_lshlrev_b64 v[18:19], 2, v[2:3]
	;; [unrolled: 1-line block ×3, first 2 shown]
	s_delay_alu instid0(VALU_DEP_1) | instskip(NEXT) | instid1(VALU_DEP_2)
	v_add_co_u32 v12, vcc_lo, s2, v10
	v_add_co_ci_u32_e32 v13, vcc_lo, s3, v11, vcc_lo
	global_load_b32 v24, v[12:13], off
	v_add_co_u32 v12, vcc_lo, s4, v10
	v_add_co_ci_u32_e32 v13, vcc_lo, s5, v11, vcc_lo
	v_add_co_u32 v14, vcc_lo, s10, v10
	v_add_co_ci_u32_e32 v15, vcc_lo, s11, v11, vcc_lo
	;; [unrolled: 2-line block ×3, first 2 shown]
	global_load_b32 v25, v[12:13], off
	global_load_b32 v26, v[14:15], off
	;; [unrolled: 1-line block ×3, first 2 shown]
	v_add_co_u32 v20, vcc_lo, s4, v16
	v_add_co_ci_u32_e32 v21, vcc_lo, s5, v17, vcc_lo
	v_add_co_u32 v22, vcc_lo, s6, v16
	v_add_co_ci_u32_e32 v23, vcc_lo, s7, v17, vcc_lo
	;; [unrolled: 2-line block ×4, first 2 shown]
	s_waitcnt vmcnt(3)
	v_fmac_f32_e32 v28, v24, v24
	s_delay_alu instid0(VALU_DEP_1) | instskip(SKIP_1) | instid1(VALU_DEP_2)
	v_dual_mul_f32 v3, 0x4f800000, v28 :: v_dual_add_nc_u32 v2, s17, v2
	v_cmp_gt_f32_e32 vcc_lo, 0xf800000, v28
	v_dual_mov_b32 v4, v9 :: v_dual_cndmask_b32 v3, v28, v3
	s_delay_alu instid0(VALU_DEP_1) | instskip(SKIP_3) | instid1(VALU_DEP_2)
	v_sqrt_f32_e32 v5, v3
	s_waitcnt_depctr 0xfff
	v_add_nc_u32_e32 v9, -1, v5
	v_add_nc_u32_e32 v28, 1, v5
	v_fma_f32 v29, -v9, v5, v3
	s_delay_alu instid0(VALU_DEP_2) | instskip(NEXT) | instid1(VALU_DEP_2)
	v_fma_f32 v30, -v28, v5, v3
	v_cmp_ge_f32_e64 s0, 0, v29
	s_delay_alu instid0(VALU_DEP_1) | instskip(NEXT) | instid1(VALU_DEP_3)
	v_cndmask_b32_e64 v5, v5, v9, s0
	v_cmp_lt_f32_e64 s0, 0, v30
	s_delay_alu instid0(VALU_DEP_1) | instskip(NEXT) | instid1(VALU_DEP_1)
	v_cndmask_b32_e64 v5, v5, v28, s0
	v_mul_f32_e32 v9, 0x37800000, v5
	s_delay_alu instid0(VALU_DEP_1) | instskip(SKIP_1) | instid1(VALU_DEP_2)
	v_cndmask_b32_e32 v5, v5, v9, vcc_lo
	v_cmp_class_f32_e64 vcc_lo, v3, 0x260
	v_cndmask_b32_e32 v3, v5, v3, vcc_lo
	s_delay_alu instid0(VALU_DEP_1) | instskip(SKIP_2) | instid1(VALU_DEP_3)
	v_div_scale_f32 v28, null, v3, v3, v24
	v_div_scale_f32 v5, null, v3, v3, v6
	v_div_scale_f32 v29, s0, v24, v3, v24
	v_rcp_f32_e32 v31, v28
	s_delay_alu instid0(VALU_DEP_2) | instskip(SKIP_4) | instid1(VALU_DEP_1)
	v_rcp_f32_e32 v30, v5
	v_div_scale_f32 v9, vcc_lo, v6, v3, v6
	s_waitcnt_depctr 0xfff
	v_fma_f32 v33, -v28, v31, 1.0
	v_fma_f32 v32, -v5, v30, 1.0
	v_dual_fmac_f32 v31, v33, v31 :: v_dual_fmac_f32 v30, v32, v30
	s_delay_alu instid0(VALU_DEP_1) | instskip(NEXT) | instid1(VALU_DEP_1)
	v_mul_f32_e32 v33, v29, v31
	v_fma_f32 v35, -v28, v33, v29
	s_delay_alu instid0(VALU_DEP_1) | instskip(NEXT) | instid1(VALU_DEP_1)
	v_dual_mul_f32 v32, v9, v30 :: v_dual_fmac_f32 v33, v35, v31
	v_fma_f32 v34, -v5, v32, v9
	s_delay_alu instid0(VALU_DEP_1) | instskip(NEXT) | instid1(VALU_DEP_1)
	v_fmac_f32_e32 v32, v34, v30
	v_fma_f32 v5, -v5, v32, v9
	s_delay_alu instid0(VALU_DEP_4) | instskip(NEXT) | instid1(VALU_DEP_2)
	v_fma_f32 v9, -v28, v33, v29
	v_div_fmas_f32 v5, v5, v30, v32
	s_mov_b32 vcc_lo, s0
	s_delay_alu instid0(VALU_DEP_2) | instskip(NEXT) | instid1(VALU_DEP_2)
	v_div_fmas_f32 v9, v9, v31, v33
	v_div_fixup_f32 v5, v5, v3, v6
	s_delay_alu instid0(VALU_DEP_2) | instskip(SKIP_1) | instid1(VALU_DEP_2)
	v_div_fixup_f32 v3, v9, v3, v24
	s_waitcnt vmcnt(2)
	v_mul_f32_e32 v9, v25, v5
	s_waitcnt vmcnt(0)
	s_delay_alu instid0(VALU_DEP_2)
	v_dual_mul_f32 v28, v5, v26 :: v_dual_mul_f32 v29, v27, v3
	v_mul_f32_e32 v24, v24, v3
	v_dual_mul_f32 v26, v3, v26 :: v_dual_mul_f32 v25, v25, v3
	global_store_b32 v[18:19], v29, off
	v_fmac_f32_e32 v24, v6, v5
	v_fmac_f32_e32 v26, v8, v5
	v_fma_f32 v6, -v7, v3, v9
	v_fmac_f32_e32 v25, v7, v5
	v_mul_f32_e32 v7, v27, v5
	v_fma_f32 v8, -v8, v3, v28
	s_clause 0x1
	global_store_b32 v[20:21], v24, off
	global_store_b32 v[12:13], v6, off
	s_clause 0x1
	global_store_b32 v[22:23], v25, off
	global_store_b32 v[10:11], v7, off
	;; [unrolled: 3-line block ×3, first 2 shown]
	s_cbranch_scc0 .LBB2_3
.LBB2_4:
	s_mul_i32 s13, s13, s18
	s_delay_alu instid0(SALU_CYCLE_1) | instskip(SKIP_2) | instid1(VALU_DEP_1)
	v_add_nc_u32_e32 v2, s13, v1
	s_sub_i32 s0, s13, s18
	s_cmp_lt_i32 s16, 3
	v_ashrrev_i32_e32 v3, 31, v2
	s_delay_alu instid0(VALU_DEP_1) | instskip(SKIP_1) | instid1(VALU_DEP_1)
	v_lshlrev_b64 v[2:3], 2, v[2:3]
	s_waitcnt lgkmcnt(0)
	v_add_co_u32 v4, vcc_lo, s10, v2
	s_delay_alu instid0(VALU_DEP_2)
	v_add_co_ci_u32_e32 v5, vcc_lo, s11, v3, vcc_lo
	v_add_co_u32 v2, vcc_lo, s4, v2
	v_add_co_ci_u32_e32 v3, vcc_lo, s5, v3, vcc_lo
	global_load_b32 v10, v[4:5], off
	global_load_b32 v11, v[2:3], off
	s_waitcnt vmcnt(0)
	v_div_scale_f32 v6, null, v11, v11, v10
	v_div_scale_f32 v7, vcc_lo, v10, v11, v10
	s_delay_alu instid0(VALU_DEP_2) | instskip(SKIP_2) | instid1(VALU_DEP_1)
	v_rcp_f32_e32 v8, v6
	s_waitcnt_depctr 0xfff
	v_fma_f32 v2, -v6, v8, 1.0
	v_fmac_f32_e32 v8, v2, v8
	s_delay_alu instid0(VALU_DEP_1) | instskip(NEXT) | instid1(VALU_DEP_1)
	v_mul_f32_e32 v9, v7, v8
	v_fma_f32 v12, -v6, v9, v7
	s_delay_alu instid0(VALU_DEP_1) | instskip(NEXT) | instid1(VALU_DEP_1)
	v_dual_fmac_f32 v9, v12, v8 :: v_dual_add_nc_u32 v2, s0, v1
	v_ashrrev_i32_e32 v3, 31, v2
	s_delay_alu instid0(VALU_DEP_2) | instskip(NEXT) | instid1(VALU_DEP_2)
	v_fma_f32 v12, -v6, v9, v7
	v_lshlrev_b64 v[2:3], 2, v[2:3]
	s_delay_alu instid0(VALU_DEP_2) | instskip(NEXT) | instid1(VALU_DEP_2)
	v_div_fmas_f32 v12, v12, v8, v9
	v_add_co_u32 v8, vcc_lo, s6, v2
	v_add_co_u32 v6, s0, s10, v2
	s_delay_alu instid0(VALU_DEP_4) | instskip(NEXT) | instid1(VALU_DEP_4)
	v_add_co_ci_u32_e32 v9, vcc_lo, s7, v3, vcc_lo
	v_div_fixup_f32 v10, v12, v11, v10
	v_add_co_u32 v2, vcc_lo, s4, v2
	v_add_co_ci_u32_e64 v7, s0, s11, v3, s0
	v_add_co_ci_u32_e32 v3, vcc_lo, s5, v3, vcc_lo
	global_load_b32 v8, v[8:9], off
	global_store_b32 v[4:5], v10, off
	global_load_b32 v4, v[6:7], off
	global_load_b32 v2, v[2:3], off
	s_waitcnt vmcnt(1)
	v_fma_f32 v3, -v10, v8, v4
	s_waitcnt vmcnt(0)
	s_delay_alu instid0(VALU_DEP_1) | instskip(NEXT) | instid1(VALU_DEP_1)
	v_div_scale_f32 v4, null, v2, v2, v3
	v_rcp_f32_e32 v5, v4
	s_waitcnt_depctr 0xfff
	v_fma_f32 v8, -v4, v5, 1.0
	s_delay_alu instid0(VALU_DEP_1) | instskip(SKIP_1) | instid1(VALU_DEP_1)
	v_fmac_f32_e32 v5, v8, v5
	v_div_scale_f32 v8, vcc_lo, v3, v2, v3
	v_mul_f32_e32 v9, v8, v5
	s_delay_alu instid0(VALU_DEP_1) | instskip(NEXT) | instid1(VALU_DEP_1)
	v_fma_f32 v10, -v4, v9, v8
	v_fmac_f32_e32 v9, v10, v5
	s_delay_alu instid0(VALU_DEP_1) | instskip(NEXT) | instid1(VALU_DEP_1)
	v_fma_f32 v4, -v4, v9, v8
	v_div_fmas_f32 v4, v4, v5, v9
	s_delay_alu instid0(VALU_DEP_1)
	v_div_fixup_f32 v2, v4, v2, v3
	global_store_b32 v[6:7], v2, off
	s_cbranch_scc1 .LBB2_7
; %bb.5:
	s_add_i32 s2, s16, -3
	s_add_i32 s0, s16, -2
	s_mul_i32 s1, s17, s2
	s_mul_i32 s2, s18, s2
	v_add3_u32 v2, s12, s1, v0
	s_mul_i32 s1, s18, s0
.LBB2_6:                                ; =>This Inner Loop Header: Depth=1
	v_add_nc_u32_e32 v4, s2, v1
	s_delay_alu instid0(VALU_DEP_2)
	v_ashrrev_i32_e32 v3, 31, v2
	v_add_nc_u32_e32 v6, s1, v1
	v_add_nc_u32_e32 v8, s13, v1
	v_subrev_nc_u32_e32 v1, s18, v1
	v_ashrrev_i32_e32 v5, 31, v4
	v_lshlrev_b64 v[10:11], 2, v[2:3]
	v_ashrrev_i32_e32 v7, 31, v6
	v_ashrrev_i32_e32 v9, 31, v8
	v_subrev_nc_u32_e32 v2, s17, v2
	v_lshlrev_b64 v[3:4], 2, v[4:5]
	s_add_i32 s0, s0, -1
	v_lshlrev_b64 v[5:6], 2, v[6:7]
	v_lshlrev_b64 v[7:8], 2, v[8:9]
	v_add_co_u32 v9, vcc_lo, s8, v10
	v_add_co_ci_u32_e32 v10, vcc_lo, s9, v11, vcc_lo
	v_add_co_u32 v11, vcc_lo, s10, v3
	v_add_co_ci_u32_e32 v12, vcc_lo, s11, v4, vcc_lo
	v_add_co_u32 v13, vcc_lo, s6, v3
	v_add_co_ci_u32_e32 v14, vcc_lo, s7, v4, vcc_lo
	v_add_co_u32 v5, vcc_lo, s10, v5
	v_add_co_ci_u32_e32 v6, vcc_lo, s11, v6, vcc_lo
	v_add_co_u32 v7, vcc_lo, s10, v7
	v_add_co_ci_u32_e32 v8, vcc_lo, s11, v8, vcc_lo
	global_load_b32 v0, v[9:10], off
	global_load_b32 v9, v[11:12], off
	;; [unrolled: 1-line block ×4, first 2 shown]
	v_add_co_u32 v3, vcc_lo, s4, v3
	v_add_co_ci_u32_e32 v4, vcc_lo, s5, v4, vcc_lo
	global_load_b32 v6, v[7:8], off
	global_load_b32 v3, v[3:4], off
	s_cmp_lg_u32 s0, 0
	s_waitcnt vmcnt(2)
	v_fma_f32 v4, -v10, v5, v9
	s_waitcnt vmcnt(1)
	s_delay_alu instid0(VALU_DEP_1) | instskip(SKIP_1) | instid1(VALU_DEP_1)
	v_fma_f32 v0, -v0, v6, v4
	s_waitcnt vmcnt(0)
	v_div_scale_f32 v4, null, v3, v3, v0
	v_div_scale_f32 v7, vcc_lo, v0, v3, v0
	s_delay_alu instid0(VALU_DEP_2) | instskip(SKIP_2) | instid1(VALU_DEP_1)
	v_rcp_f32_e32 v5, v4
	s_waitcnt_depctr 0xfff
	v_fma_f32 v6, -v4, v5, 1.0
	v_fmac_f32_e32 v5, v6, v5
	s_delay_alu instid0(VALU_DEP_1) | instskip(NEXT) | instid1(VALU_DEP_1)
	v_mul_f32_e32 v6, v7, v5
	v_fma_f32 v8, -v4, v6, v7
	s_delay_alu instid0(VALU_DEP_1) | instskip(NEXT) | instid1(VALU_DEP_1)
	v_fmac_f32_e32 v6, v8, v5
	v_fma_f32 v4, -v4, v6, v7
	s_delay_alu instid0(VALU_DEP_1) | instskip(NEXT) | instid1(VALU_DEP_1)
	v_div_fmas_f32 v4, v4, v5, v6
	v_div_fixup_f32 v0, v4, v3, v0
	global_store_b32 v[11:12], v0, off
	s_cbranch_scc1 .LBB2_6
.LBB2_7:
	s_nop 0
	s_sendmsg sendmsg(MSG_DEALLOC_VGPRS)
	s_endpgm
	.section	.rodata,"a",@progbits
	.p2align	6, 0x0
	.amdhsa_kernel _ZN9rocsparseL32gtsv_interleaved_batch_qr_kernelILj128EfEEviiiPKT0_PS1_S4_S4_S4_
		.amdhsa_group_segment_fixed_size 0
		.amdhsa_private_segment_fixed_size 0
		.amdhsa_kernarg_size 56
		.amdhsa_user_sgpr_count 15
		.amdhsa_user_sgpr_dispatch_ptr 0
		.amdhsa_user_sgpr_queue_ptr 0
		.amdhsa_user_sgpr_kernarg_segment_ptr 1
		.amdhsa_user_sgpr_dispatch_id 0
		.amdhsa_user_sgpr_private_segment_size 0
		.amdhsa_wavefront_size32 1
		.amdhsa_uses_dynamic_stack 0
		.amdhsa_enable_private_segment 0
		.amdhsa_system_sgpr_workgroup_id_x 1
		.amdhsa_system_sgpr_workgroup_id_y 0
		.amdhsa_system_sgpr_workgroup_id_z 0
		.amdhsa_system_sgpr_workgroup_info 0
		.amdhsa_system_vgpr_workitem_id 0
		.amdhsa_next_free_vgpr 36
		.amdhsa_next_free_sgpr 20
		.amdhsa_reserve_vcc 1
		.amdhsa_float_round_mode_32 0
		.amdhsa_float_round_mode_16_64 0
		.amdhsa_float_denorm_mode_32 3
		.amdhsa_float_denorm_mode_16_64 3
		.amdhsa_dx10_clamp 1
		.amdhsa_ieee_mode 1
		.amdhsa_fp16_overflow 0
		.amdhsa_workgroup_processor_mode 1
		.amdhsa_memory_ordered 1
		.amdhsa_forward_progress 0
		.amdhsa_shared_vgpr_count 0
		.amdhsa_exception_fp_ieee_invalid_op 0
		.amdhsa_exception_fp_denorm_src 0
		.amdhsa_exception_fp_ieee_div_zero 0
		.amdhsa_exception_fp_ieee_overflow 0
		.amdhsa_exception_fp_ieee_underflow 0
		.amdhsa_exception_fp_ieee_inexact 0
		.amdhsa_exception_int_div_zero 0
	.end_amdhsa_kernel
	.section	.text._ZN9rocsparseL32gtsv_interleaved_batch_qr_kernelILj128EfEEviiiPKT0_PS1_S4_S4_S4_,"axG",@progbits,_ZN9rocsparseL32gtsv_interleaved_batch_qr_kernelILj128EfEEviiiPKT0_PS1_S4_S4_S4_,comdat
.Lfunc_end2:
	.size	_ZN9rocsparseL32gtsv_interleaved_batch_qr_kernelILj128EfEEviiiPKT0_PS1_S4_S4_S4_, .Lfunc_end2-_ZN9rocsparseL32gtsv_interleaved_batch_qr_kernelILj128EfEEviiiPKT0_PS1_S4_S4_S4_
                                        ; -- End function
	.section	.AMDGPU.csdata,"",@progbits
; Kernel info:
; codeLenInByte = 1612
; NumSgprs: 22
; NumVgprs: 36
; ScratchSize: 0
; MemoryBound: 0
; FloatMode: 240
; IeeeMode: 1
; LDSByteSize: 0 bytes/workgroup (compile time only)
; SGPRBlocks: 2
; VGPRBlocks: 4
; NumSGPRsForWavesPerEU: 22
; NumVGPRsForWavesPerEU: 36
; Occupancy: 16
; WaveLimiterHint : 0
; COMPUTE_PGM_RSRC2:SCRATCH_EN: 0
; COMPUTE_PGM_RSRC2:USER_SGPR: 15
; COMPUTE_PGM_RSRC2:TRAP_HANDLER: 0
; COMPUTE_PGM_RSRC2:TGID_X_EN: 1
; COMPUTE_PGM_RSRC2:TGID_Y_EN: 0
; COMPUTE_PGM_RSRC2:TGID_Z_EN: 0
; COMPUTE_PGM_RSRC2:TIDIG_COMP_CNT: 0
	.section	.text._ZN9rocsparseL36gtsv_interleaved_batch_thomas_kernelILj128EdEEviiiPKT0_S3_S3_PS1_S4_S4_,"axG",@progbits,_ZN9rocsparseL36gtsv_interleaved_batch_thomas_kernelILj128EdEEviiiPKT0_S3_S3_PS1_S4_S4_,comdat
	.globl	_ZN9rocsparseL36gtsv_interleaved_batch_thomas_kernelILj128EdEEviiiPKT0_S3_S3_PS1_S4_S4_ ; -- Begin function _ZN9rocsparseL36gtsv_interleaved_batch_thomas_kernelILj128EdEEviiiPKT0_S3_S3_PS1_S4_S4_
	.p2align	8
	.type	_ZN9rocsparseL36gtsv_interleaved_batch_thomas_kernelILj128EdEEviiiPKT0_S3_S3_PS1_S4_S4_,@function
_ZN9rocsparseL36gtsv_interleaved_batch_thomas_kernelILj128EdEEviiiPKT0_S3_S3_PS1_S4_S4_: ; @_ZN9rocsparseL36gtsv_interleaved_batch_thomas_kernelILj128EdEEviiiPKT0_S3_S3_PS1_S4_S4_
; %bb.0:
	s_load_b128 s[16:19], s[0:1], 0x0
	s_lshl_b32 s14, s15, 7
	s_mov_b32 s2, exec_lo
	v_or_b32_e32 v1, s14, v0
	s_waitcnt lgkmcnt(0)
	s_delay_alu instid0(VALU_DEP_1)
	v_cmpx_gt_i32_e64 s17, v1
	s_cbranch_execz .LBB3_9
; %bb.1:
	s_clause 0x1
	s_load_b256 s[4:11], s[0:1], 0x18
	s_load_b64 s[12:13], s[0:1], 0x38
	v_ashrrev_i32_e32 v2, 31, v1
	s_cmp_gt_i32 s16, 1
	s_cselect_b32 s22, -1, 0
	s_delay_alu instid0(VALU_DEP_1) | instskip(SKIP_1) | instid1(VALU_DEP_1)
	v_lshlrev_b64 v[8:9], 3, v[1:2]
	s_waitcnt lgkmcnt(0)
	v_add_co_u32 v3, vcc_lo, s6, v8
	s_delay_alu instid0(VALU_DEP_2)
	v_add_co_ci_u32_e32 v4, vcc_lo, s7, v9, vcc_lo
	v_add_co_u32 v5, vcc_lo, s4, v8
	v_add_co_ci_u32_e32 v6, vcc_lo, s5, v9, vcc_lo
	v_add_co_u32 v1, vcc_lo, s12, v8
	v_add_co_ci_u32_e32 v2, vcc_lo, s13, v9, vcc_lo
	global_load_b64 v[3:4], v[3:4], off
	global_load_b64 v[5:6], v[5:6], off
	;; [unrolled: 1-line block ×3, first 2 shown]
	s_waitcnt vmcnt(1)
	v_div_scale_f64 v[12:13], null, v[5:6], v[5:6], v[3:4]
	s_waitcnt vmcnt(0)
	v_div_scale_f64 v[14:15], null, v[5:6], v[5:6], v[10:11]
	v_div_scale_f64 v[24:25], vcc_lo, v[3:4], v[5:6], v[3:4]
	s_delay_alu instid0(VALU_DEP_3) | instskip(NEXT) | instid1(VALU_DEP_2)
	v_rcp_f64_e32 v[16:17], v[12:13]
	v_rcp_f64_e32 v[18:19], v[14:15]
	s_waitcnt_depctr 0xfff
	v_fma_f64 v[20:21], -v[12:13], v[16:17], 1.0
	v_fma_f64 v[22:23], -v[14:15], v[18:19], 1.0
	s_delay_alu instid0(VALU_DEP_2) | instskip(NEXT) | instid1(VALU_DEP_2)
	v_fma_f64 v[16:17], v[16:17], v[20:21], v[16:17]
	v_fma_f64 v[18:19], v[18:19], v[22:23], v[18:19]
	s_delay_alu instid0(VALU_DEP_2) | instskip(NEXT) | instid1(VALU_DEP_2)
	v_fma_f64 v[20:21], -v[12:13], v[16:17], 1.0
	v_fma_f64 v[22:23], -v[14:15], v[18:19], 1.0
	s_delay_alu instid0(VALU_DEP_2) | instskip(SKIP_1) | instid1(VALU_DEP_3)
	v_fma_f64 v[16:17], v[16:17], v[20:21], v[16:17]
	v_div_scale_f64 v[20:21], s2, v[10:11], v[5:6], v[10:11]
	v_fma_f64 v[18:19], v[18:19], v[22:23], v[18:19]
	s_delay_alu instid0(VALU_DEP_3) | instskip(NEXT) | instid1(VALU_DEP_2)
	v_mul_f64 v[22:23], v[24:25], v[16:17]
	v_mul_f64 v[26:27], v[20:21], v[18:19]
	s_delay_alu instid0(VALU_DEP_2) | instskip(NEXT) | instid1(VALU_DEP_2)
	v_fma_f64 v[12:13], -v[12:13], v[22:23], v[24:25]
	v_fma_f64 v[14:15], -v[14:15], v[26:27], v[20:21]
	s_delay_alu instid0(VALU_DEP_2) | instskip(SKIP_1) | instid1(VALU_DEP_2)
	v_div_fmas_f64 v[12:13], v[12:13], v[16:17], v[22:23]
	s_mov_b32 vcc_lo, s2
	v_div_fmas_f64 v[14:15], v[14:15], v[18:19], v[26:27]
	s_delay_alu instid0(VALU_DEP_2) | instskip(SKIP_1) | instid1(VALU_DEP_3)
	v_div_fixup_f64 v[12:13], v[12:13], v[5:6], v[3:4]
	v_add_co_u32 v3, vcc_lo, s8, v8
	v_div_fixup_f64 v[10:11], v[14:15], v[5:6], v[10:11]
	v_add_co_ci_u32_e32 v4, vcc_lo, s9, v9, vcc_lo
	v_add_co_u32 v5, vcc_lo, s10, v8
	v_add_co_ci_u32_e32 v6, vcc_lo, s11, v9, vcc_lo
	s_and_b32 vcc_lo, exec_lo, s22
	global_store_b64 v[3:4], v[12:13], off
	global_store_b64 v[5:6], v[10:11], off
	s_cbranch_vccnz .LBB3_3
; %bb.2:
	s_add_i32 s19, s16, -1
	s_cbranch_execz .LBB3_4
	s_branch .LBB3_6
.LBB3_3:
                                        ; implicit-def: $sgpr19
.LBB3_4:
	s_load_b64 s[0:1], s[0:1], 0x10
	s_ashr_i32 s19, s18, 31
	s_ashr_i32 s21, s17, 31
	s_lshl_b64 s[2:3], s[18:19], 3
	s_mov_b32 s20, s17
	v_add_co_u32 v10, vcc_lo, s2, v8
	v_add3_u32 v7, s14, s18, v0
	s_lshl_b64 s[14:15], s[20:21], 3
	v_add_co_ci_u32_e32 v11, vcc_lo, s3, v9, vcc_lo
	v_add_co_u32 v0, vcc_lo, s14, v8
	v_add_co_ci_u32_e32 v9, vcc_lo, s15, v9, vcc_lo
	s_add_i32 s19, s16, -1
	s_mov_b32 s20, 0
	s_mov_b32 s23, s19
.LBB3_5:                                ; =>This Inner Loop Header: Depth=1
	v_ashrrev_i32_e32 v8, 31, v7
	s_ashr_i32 s21, s20, 31
	v_add_co_u32 v12, vcc_lo, s4, v10
	s_lshl_b64 s[24:25], s[20:21], 3
	s_delay_alu instid0(VALU_DEP_2) | instskip(SKIP_4) | instid1(VALU_DEP_4)
	v_lshlrev_b64 v[16:17], 3, v[7:8]
	v_add_co_ci_u32_e32 v13, vcc_lo, s5, v11, vcc_lo
	v_add_co_u32 v14, vcc_lo, v3, s24
	v_add_co_ci_u32_e32 v15, vcc_lo, s25, v4, vcc_lo
	s_waitcnt lgkmcnt(0)
	v_add_co_u32 v16, vcc_lo, s0, v16
	v_add_co_ci_u32_e32 v17, vcc_lo, s1, v17, vcc_lo
	global_load_b64 v[12:13], v[12:13], off
	global_load_b64 v[18:19], v[14:15], off
	;; [unrolled: 1-line block ×3, first 2 shown]
	v_add_co_u32 v20, vcc_lo, s6, v10
	v_add_co_ci_u32_e32 v21, vcc_lo, s7, v11, vcc_lo
	v_add_nc_u32_e32 v7, s18, v7
	s_add_i32 s23, s23, -1
	s_add_i32 s20, s20, s17
	global_load_b64 v[20:21], v[20:21], off
	s_cmp_eq_u32 s23, 0
	s_waitcnt vmcnt(1)
	v_fma_f64 v[18:19], -v[16:17], v[18:19], v[12:13]
	s_waitcnt vmcnt(0)
	s_delay_alu instid0(VALU_DEP_1) | instskip(SKIP_1) | instid1(VALU_DEP_2)
	v_div_scale_f64 v[22:23], null, v[18:19], v[18:19], v[20:21]
	v_div_scale_f64 v[28:29], vcc_lo, v[20:21], v[18:19], v[20:21]
	v_rcp_f64_e32 v[24:25], v[22:23]
	s_waitcnt_depctr 0xfff
	v_fma_f64 v[26:27], -v[22:23], v[24:25], 1.0
	s_delay_alu instid0(VALU_DEP_1) | instskip(NEXT) | instid1(VALU_DEP_1)
	v_fma_f64 v[24:25], v[24:25], v[26:27], v[24:25]
	v_fma_f64 v[26:27], -v[22:23], v[24:25], 1.0
	s_delay_alu instid0(VALU_DEP_1) | instskip(NEXT) | instid1(VALU_DEP_1)
	v_fma_f64 v[24:25], v[24:25], v[26:27], v[24:25]
	v_mul_f64 v[26:27], v[28:29], v[24:25]
	s_delay_alu instid0(VALU_DEP_1) | instskip(NEXT) | instid1(VALU_DEP_1)
	v_fma_f64 v[22:23], -v[22:23], v[26:27], v[28:29]
	v_div_fmas_f64 v[22:23], v[22:23], v[24:25], v[26:27]
	s_delay_alu instid0(VALU_DEP_1)
	v_div_fixup_f64 v[18:19], v[22:23], v[18:19], v[20:21]
	v_add_co_u32 v20, vcc_lo, s12, v10
	v_add_co_ci_u32_e32 v21, vcc_lo, s13, v11, vcc_lo
	v_add_co_u32 v22, vcc_lo, s8, v0
	v_add_co_ci_u32_e32 v23, vcc_lo, s9, v9, vcc_lo
	;; [unrolled: 2-line block ×3, first 2 shown]
	global_load_b64 v[20:21], v[20:21], off
	global_load_b64 v[24:25], v[24:25], off
	global_store_b64 v[22:23], v[18:19], off
	global_load_b64 v[14:15], v[14:15], off
	s_waitcnt vmcnt(1)
	v_fma_f64 v[18:19], -v[16:17], v[24:25], v[20:21]
	s_waitcnt vmcnt(0)
	v_fma_f64 v[12:13], -v[16:17], v[14:15], v[12:13]
	s_delay_alu instid0(VALU_DEP_1) | instskip(SKIP_1) | instid1(VALU_DEP_2)
	v_div_scale_f64 v[14:15], null, v[12:13], v[12:13], v[18:19]
	v_div_scale_f64 v[22:23], vcc_lo, v[18:19], v[12:13], v[18:19]
	v_rcp_f64_e32 v[16:17], v[14:15]
	s_waitcnt_depctr 0xfff
	v_fma_f64 v[20:21], -v[14:15], v[16:17], 1.0
	s_delay_alu instid0(VALU_DEP_1) | instskip(NEXT) | instid1(VALU_DEP_1)
	v_fma_f64 v[16:17], v[16:17], v[20:21], v[16:17]
	v_fma_f64 v[20:21], -v[14:15], v[16:17], 1.0
	s_delay_alu instid0(VALU_DEP_1) | instskip(NEXT) | instid1(VALU_DEP_1)
	v_fma_f64 v[16:17], v[16:17], v[20:21], v[16:17]
	v_mul_f64 v[20:21], v[22:23], v[16:17]
	s_delay_alu instid0(VALU_DEP_1) | instskip(NEXT) | instid1(VALU_DEP_1)
	v_fma_f64 v[14:15], -v[14:15], v[20:21], v[22:23]
	v_div_fmas_f64 v[14:15], v[14:15], v[16:17], v[20:21]
	s_delay_alu instid0(VALU_DEP_1)
	v_div_fixup_f64 v[12:13], v[14:15], v[12:13], v[18:19]
	v_add_co_u32 v14, vcc_lo, s10, v0
	v_add_co_ci_u32_e32 v15, vcc_lo, s11, v9, vcc_lo
	v_add_co_u32 v10, vcc_lo, v10, s2
	v_add_co_ci_u32_e32 v11, vcc_lo, s3, v11, vcc_lo
	;; [unrolled: 2-line block ×3, first 2 shown]
	global_store_b64 v[14:15], v[12:13], off
	s_cbranch_scc0 .LBB3_5
.LBB3_6:
	s_mul_i32 s0, s19, s17
	s_delay_alu instid0(SALU_CYCLE_1) | instskip(NEXT) | instid1(SALU_CYCLE_1)
	s_ashr_i32 s1, s0, 31
	s_lshl_b64 s[0:1], s[0:1], 3
	s_delay_alu instid0(SALU_CYCLE_1) | instskip(SKIP_2) | instid1(SALU_CYCLE_1)
	v_add_co_u32 v7, vcc_lo, v5, s0
	v_add_co_ci_u32_e32 v8, vcc_lo, s1, v6, vcc_lo
	s_mul_i32 s0, s19, s18
	s_ashr_i32 s1, s0, 31
	global_load_b64 v[7:8], v[7:8], off
	s_lshl_b64 s[2:3], s[0:1], 3
	s_delay_alu instid0(SALU_CYCLE_1)
	v_add_co_u32 v9, vcc_lo, v1, s2
	v_add_co_ci_u32_e32 v10, vcc_lo, s3, v2, vcc_lo
	s_and_not1_b32 vcc_lo, exec_lo, s22
	s_waitcnt vmcnt(0)
	global_store_b64 v[9:10], v[7:8], off
	s_cbranch_vccnz .LBB3_9
; %bb.7:
	s_add_i32 s2, s16, -2
	s_mov_b32 s4, 0
	s_mul_i32 s1, s18, s2
	s_mul_i32 s2, s17, s2
	s_set_inst_prefetch_distance 0x1
	.p2align	6
.LBB3_8:                                ; =>This Inner Loop Header: Depth=1
	s_ashr_i32 s3, s2, 31
	s_add_i32 s6, s0, s4
	s_lshl_b64 s[8:9], s[2:3], 3
	s_ashr_i32 s7, s6, 31
	v_add_co_u32 v7, vcc_lo, v5, s8
	v_add_co_ci_u32_e32 v8, vcc_lo, s9, v6, vcc_lo
	v_add_co_u32 v9, vcc_lo, v3, s8
	s_lshl_b64 s[6:7], s[6:7], 3
	v_add_co_ci_u32_e32 v10, vcc_lo, s9, v4, vcc_lo
	v_add_co_u32 v11, vcc_lo, v1, s6
	v_add_co_ci_u32_e32 v12, vcc_lo, s7, v2, vcc_lo
	global_load_b64 v[7:8], v[7:8], off
	global_load_b64 v[9:10], v[9:10], off
	;; [unrolled: 1-line block ×3, first 2 shown]
	s_add_i32 s6, s1, s4
	s_add_i32 s19, s19, -1
	s_ashr_i32 s7, s6, 31
	s_sub_i32 s4, s4, s18
	s_lshl_b64 s[6:7], s[6:7], 3
	s_sub_i32 s2, s2, s17
	s_cmp_lg_u32 s19, 0
	s_waitcnt vmcnt(0)
	v_fma_f64 v[7:8], -v[9:10], v[11:12], v[7:8]
	v_add_co_u32 v9, vcc_lo, v1, s6
	v_add_co_ci_u32_e32 v10, vcc_lo, s7, v2, vcc_lo
	global_store_b64 v[9:10], v[7:8], off
	s_cbranch_scc1 .LBB3_8
.LBB3_9:
	s_set_inst_prefetch_distance 0x2
	s_nop 0
	s_sendmsg sendmsg(MSG_DEALLOC_VGPRS)
	s_endpgm
	.section	.rodata,"a",@progbits
	.p2align	6, 0x0
	.amdhsa_kernel _ZN9rocsparseL36gtsv_interleaved_batch_thomas_kernelILj128EdEEviiiPKT0_S3_S3_PS1_S4_S4_
		.amdhsa_group_segment_fixed_size 0
		.amdhsa_private_segment_fixed_size 0
		.amdhsa_kernarg_size 64
		.amdhsa_user_sgpr_count 15
		.amdhsa_user_sgpr_dispatch_ptr 0
		.amdhsa_user_sgpr_queue_ptr 0
		.amdhsa_user_sgpr_kernarg_segment_ptr 1
		.amdhsa_user_sgpr_dispatch_id 0
		.amdhsa_user_sgpr_private_segment_size 0
		.amdhsa_wavefront_size32 1
		.amdhsa_uses_dynamic_stack 0
		.amdhsa_enable_private_segment 0
		.amdhsa_system_sgpr_workgroup_id_x 1
		.amdhsa_system_sgpr_workgroup_id_y 0
		.amdhsa_system_sgpr_workgroup_id_z 0
		.amdhsa_system_sgpr_workgroup_info 0
		.amdhsa_system_vgpr_workitem_id 0
		.amdhsa_next_free_vgpr 30
		.amdhsa_next_free_sgpr 26
		.amdhsa_reserve_vcc 1
		.amdhsa_float_round_mode_32 0
		.amdhsa_float_round_mode_16_64 0
		.amdhsa_float_denorm_mode_32 3
		.amdhsa_float_denorm_mode_16_64 3
		.amdhsa_dx10_clamp 1
		.amdhsa_ieee_mode 1
		.amdhsa_fp16_overflow 0
		.amdhsa_workgroup_processor_mode 1
		.amdhsa_memory_ordered 1
		.amdhsa_forward_progress 0
		.amdhsa_shared_vgpr_count 0
		.amdhsa_exception_fp_ieee_invalid_op 0
		.amdhsa_exception_fp_denorm_src 0
		.amdhsa_exception_fp_ieee_div_zero 0
		.amdhsa_exception_fp_ieee_overflow 0
		.amdhsa_exception_fp_ieee_underflow 0
		.amdhsa_exception_fp_ieee_inexact 0
		.amdhsa_exception_int_div_zero 0
	.end_amdhsa_kernel
	.section	.text._ZN9rocsparseL36gtsv_interleaved_batch_thomas_kernelILj128EdEEviiiPKT0_S3_S3_PS1_S4_S4_,"axG",@progbits,_ZN9rocsparseL36gtsv_interleaved_batch_thomas_kernelILj128EdEEviiiPKT0_S3_S3_PS1_S4_S4_,comdat
.Lfunc_end3:
	.size	_ZN9rocsparseL36gtsv_interleaved_batch_thomas_kernelILj128EdEEviiiPKT0_S3_S3_PS1_S4_S4_, .Lfunc_end3-_ZN9rocsparseL36gtsv_interleaved_batch_thomas_kernelILj128EdEEviiiPKT0_S3_S3_PS1_S4_S4_
                                        ; -- End function
	.section	.AMDGPU.csdata,"",@progbits
; Kernel info:
; codeLenInByte = 1264
; NumSgprs: 28
; NumVgprs: 30
; ScratchSize: 0
; MemoryBound: 0
; FloatMode: 240
; IeeeMode: 1
; LDSByteSize: 0 bytes/workgroup (compile time only)
; SGPRBlocks: 3
; VGPRBlocks: 3
; NumSGPRsForWavesPerEU: 28
; NumVGPRsForWavesPerEU: 30
; Occupancy: 16
; WaveLimiterHint : 0
; COMPUTE_PGM_RSRC2:SCRATCH_EN: 0
; COMPUTE_PGM_RSRC2:USER_SGPR: 15
; COMPUTE_PGM_RSRC2:TRAP_HANDLER: 0
; COMPUTE_PGM_RSRC2:TGID_X_EN: 1
; COMPUTE_PGM_RSRC2:TGID_Y_EN: 0
; COMPUTE_PGM_RSRC2:TGID_Z_EN: 0
; COMPUTE_PGM_RSRC2:TIDIG_COMP_CNT: 0
	.section	.text._ZN9rocsparseL32gtsv_interleaved_batch_lu_kernelILj128EdEEviiiPT0_S2_S2_S2_PiS2_,"axG",@progbits,_ZN9rocsparseL32gtsv_interleaved_batch_lu_kernelILj128EdEEviiiPT0_S2_S2_S2_PiS2_,comdat
	.globl	_ZN9rocsparseL32gtsv_interleaved_batch_lu_kernelILj128EdEEviiiPT0_S2_S2_S2_PiS2_ ; -- Begin function _ZN9rocsparseL32gtsv_interleaved_batch_lu_kernelILj128EdEEviiiPT0_S2_S2_S2_PiS2_
	.p2align	8
	.type	_ZN9rocsparseL32gtsv_interleaved_batch_lu_kernelILj128EdEEviiiPT0_S2_S2_S2_PiS2_,@function
_ZN9rocsparseL32gtsv_interleaved_batch_lu_kernelILj128EdEEviiiPT0_S2_S2_S2_PiS2_: ; @_ZN9rocsparseL32gtsv_interleaved_batch_lu_kernelILj128EdEEviiiPT0_S2_S2_S2_PiS2_
; %bb.0:
	s_load_b128 s[16:19], s[0:1], 0x0
	s_lshl_b32 s14, s15, 7
	s_mov_b32 s2, exec_lo
	v_or_b32_e32 v1, s14, v0
	s_waitcnt lgkmcnt(0)
	s_delay_alu instid0(VALU_DEP_1)
	v_cmpx_gt_i32_e64 s17, v1
	s_cbranch_execz .LBB4_19
; %bb.1:
	s_clause 0x1
	s_load_b256 s[4:11], s[0:1], 0x18
	s_load_b64 s[2:3], s[0:1], 0x38
	v_ashrrev_i32_e32 v2, 31, v1
	v_mov_b32_e32 v4, 0
	s_add_i32 s15, s16, -1
	s_cmp_lt_i32 s16, 2
	s_delay_alu instid0(VALU_DEP_2) | instskip(SKIP_1) | instid1(VALU_DEP_1)
	v_lshlrev_b64 v[2:3], 2, v[1:2]
	s_waitcnt lgkmcnt(0)
	v_add_co_u32 v2, vcc_lo, s10, v2
	s_delay_alu instid0(VALU_DEP_2)
	v_add_co_ci_u32_e32 v3, vcc_lo, s11, v3, vcc_lo
	global_store_b32 v[2:3], v4, off
	s_cbranch_scc1 .LBB4_16
; %bb.2:
	s_load_b64 s[12:13], s[0:1], 0x10
	s_mov_b32 s1, 0
	s_branch .LBB4_4
.LBB4_3:                                ;   in Loop: Header=BB4_4 Depth=1
	s_or_b32 exec_lo, exec_lo, s19
	s_cmp_eq_u32 s0, s15
	s_mov_b32 s1, s0
	s_cbranch_scc1 .LBB4_8
.LBB4_4:                                ; =>This Inner Loop Header: Depth=1
	v_mad_u64_u32 v[4:5], null, s1, s18, v[1:2]
	s_mov_b32 s19, exec_lo
	s_delay_alu instid0(VALU_DEP_1) | instskip(SKIP_1) | instid1(VALU_DEP_2)
	v_add_nc_u32_e32 v6, s18, v4
	v_ashrrev_i32_e32 v5, 31, v4
	v_ashrrev_i32_e32 v7, 31, v6
	s_delay_alu instid0(VALU_DEP_2) | instskip(NEXT) | instid1(VALU_DEP_2)
	v_lshlrev_b64 v[12:13], 3, v[4:5]
	v_lshlrev_b64 v[10:11], 3, v[6:7]
	s_delay_alu instid0(VALU_DEP_2) | instskip(NEXT) | instid1(VALU_DEP_3)
	v_add_co_u32 v14, vcc_lo, s4, v12
	v_add_co_ci_u32_e32 v15, vcc_lo, s5, v13, vcc_lo
	s_waitcnt lgkmcnt(0)
	s_delay_alu instid0(VALU_DEP_3) | instskip(NEXT) | instid1(VALU_DEP_4)
	v_add_co_u32 v4, vcc_lo, s12, v10
	v_add_co_ci_u32_e32 v5, vcc_lo, s13, v11, vcc_lo
	global_load_b64 v[8:9], v[14:15], off
	global_load_b64 v[6:7], v[4:5], off
	s_waitcnt vmcnt(1)
	v_cmp_gt_f64_e32 vcc_lo, 0, v[8:9]
	s_waitcnt vmcnt(0)
	v_cmp_gt_f64_e64 s0, 0, v[6:7]
	v_xor_b32_e32 v16, 0x80000000, v9
	v_xor_b32_e32 v18, 0x80000000, v7
	s_delay_alu instid0(VALU_DEP_2) | instskip(SKIP_1) | instid1(VALU_DEP_3)
	v_cndmask_b32_e32 v17, v9, v16, vcc_lo
	v_cndmask_b32_e32 v16, v8, v8, vcc_lo
	v_cndmask_b32_e64 v19, v7, v18, s0
	v_cndmask_b32_e64 v18, v6, v6, s0
	s_add_i32 s0, s1, 1
	s_delay_alu instid0(VALU_DEP_1)
	v_cmpx_nlt_f64_e32 v[16:17], v[18:19]
	s_xor_b32 s19, exec_lo, s19
	s_cbranch_execnz .LBB4_6
; %bb.5:                                ;   in Loop: Header=BB4_4 Depth=1
	s_and_not1_saveexec_b32 s19, s19
	s_cbranch_execz .LBB4_3
	s_branch .LBB4_7
.LBB4_6:                                ;   in Loop: Header=BB4_4 Depth=1
	v_div_scale_f64 v[14:15], null, v[8:9], v[8:9], v[6:7]
	v_mad_u64_u32 v[16:17], null, s1, s17, v[1:2]
	v_add_co_u32 v20, vcc_lo, s4, v10
	v_add_co_ci_u32_e32 v21, vcc_lo, s5, v11, vcc_lo
	v_add_co_u32 v12, vcc_lo, s6, v12
	s_delay_alu instid0(VALU_DEP_4) | instskip(SKIP_2) | instid1(VALU_DEP_3)
	v_ashrrev_i32_e32 v17, 31, v16
	v_add_co_ci_u32_e32 v13, vcc_lo, s7, v13, vcc_lo
	v_add_co_u32 v10, vcc_lo, s6, v10
	v_lshlrev_b64 v[16:17], 3, v[16:17]
	v_add_co_ci_u32_e32 v11, vcc_lo, s7, v11, vcc_lo
	s_mul_i32 s20, s0, s17
	s_delay_alu instid0(SALU_CYCLE_1) | instskip(NEXT) | instid1(VALU_DEP_2)
	s_ashr_i32 s21, s20, 31
	v_add_co_u32 v16, vcc_lo, s8, v16
	s_delay_alu instid0(VALU_DEP_3)
	v_add_co_ci_u32_e32 v17, vcc_lo, s9, v17, vcc_lo
	global_load_b64 v[22:23], v[20:21], off
	s_clause 0x1
	global_load_b64 v[12:13], v[12:13], off
	global_load_b64 v[24:25], v[10:11], off
	;; [unrolled: 1-line block ×3, first 2 shown]
	v_div_scale_f64 v[28:29], vcc_lo, v[6:7], v[8:9], v[6:7]
	s_lshl_b64 s[20:21], s[20:21], 2
	v_rcp_f64_e32 v[18:19], v[14:15]
	s_waitcnt_depctr 0xfff
	v_fma_f64 v[26:27], -v[14:15], v[18:19], 1.0
	s_delay_alu instid0(VALU_DEP_1) | instskip(NEXT) | instid1(VALU_DEP_1)
	v_fma_f64 v[18:19], v[18:19], v[26:27], v[18:19]
	v_fma_f64 v[26:27], -v[14:15], v[18:19], 1.0
	s_delay_alu instid0(VALU_DEP_1) | instskip(NEXT) | instid1(VALU_DEP_1)
	v_fma_f64 v[18:19], v[18:19], v[26:27], v[18:19]
	v_mul_f64 v[26:27], v[28:29], v[18:19]
	s_delay_alu instid0(VALU_DEP_1) | instskip(NEXT) | instid1(VALU_DEP_1)
	v_fma_f64 v[14:15], -v[14:15], v[26:27], v[28:29]
	v_div_fmas_f64 v[14:15], v[14:15], v[18:19], v[26:27]
	s_delay_alu instid0(VALU_DEP_1) | instskip(SKIP_3) | instid1(VALU_DEP_3)
	v_div_fixup_f64 v[6:7], v[14:15], v[8:9], v[6:7]
	v_add_co_u32 v14, vcc_lo, v2, s20
	v_add_co_ci_u32_e32 v15, vcc_lo, s21, v3, vcc_lo
	s_waitcnt vmcnt(2)
	v_fma_f64 v[8:9], -v[6:7], v[12:13], v[22:23]
	s_waitcnt vmcnt(0)
	v_fma_f64 v[12:13], -v[6:7], v[16:17], v[24:25]
	v_mov_b32_e32 v16, s0
	global_store_b32 v[14:15], v16, off
	global_store_b64 v[4:5], v[6:7], off
	global_store_b64 v[20:21], v[8:9], off
	;; [unrolled: 1-line block ×3, first 2 shown]
                                        ; implicit-def: $vgpr10_vgpr11
                                        ; implicit-def: $vgpr12_vgpr13
                                        ; implicit-def: $vgpr14_vgpr15
                                        ; implicit-def: $vgpr6_vgpr7
                                        ; implicit-def: $vgpr8_vgpr9
                                        ; implicit-def: $vgpr4_vgpr5
	s_and_not1_saveexec_b32 s19, s19
	s_cbranch_execz .LBB4_3
.LBB4_7:                                ;   in Loop: Header=BB4_4 Depth=1
	s_mul_i32 s20, s1, s17
	v_add_co_u32 v19, vcc_lo, s4, v10
	v_add_nc_u32_e32 v16, s20, v1
	v_add_co_ci_u32_e32 v20, vcc_lo, s5, v11, vcc_lo
	v_div_scale_f64 v[25:26], null, v[6:7], v[6:7], v[8:9]
	s_delay_alu instid0(VALU_DEP_3) | instskip(SKIP_1) | instid1(SALU_CYCLE_1)
	v_ashrrev_i32_e32 v17, 31, v16
	s_ashr_i32 s21, s20, 31
	s_lshl_b64 s[20:21], s[20:21], 2
	s_delay_alu instid0(VALU_DEP_1) | instskip(NEXT) | instid1(VALU_DEP_1)
	v_lshlrev_b64 v[17:18], 3, v[16:17]
	v_add_co_u32 v17, vcc_lo, s8, v17
	s_delay_alu instid0(VALU_DEP_2)
	v_add_co_ci_u32_e32 v18, vcc_lo, s9, v18, vcc_lo
	v_add_co_u32 v29, vcc_lo, s6, v12
	global_load_b64 v[21:22], v[19:20], off
	global_load_b64 v[23:24], v[17:18], off
	v_add_co_ci_u32_e32 v30, vcc_lo, s7, v13, vcc_lo
	v_add_co_u32 v31, vcc_lo, s6, v10
	v_add_co_ci_u32_e32 v32, vcc_lo, s7, v11, vcc_lo
	s_clause 0x1
	global_load_b64 v[33:34], v[29:30], off
	global_load_b64 v[35:36], v[31:32], off
	v_add_co_u32 v12, vcc_lo, s2, v12
	v_add_co_ci_u32_e32 v13, vcc_lo, s3, v13, vcc_lo
	v_add_co_u32 v10, vcc_lo, s2, v10
	v_add_co_ci_u32_e32 v11, vcc_lo, s3, v11, vcc_lo
	v_add_co_u32 v37, vcc_lo, v2, s20
	v_rcp_f64_e32 v[27:28], v[25:26]
	v_add_co_ci_u32_e32 v38, vcc_lo, s21, v3, vcc_lo
	v_div_scale_f64 v[43:44], vcc_lo, v[8:9], v[6:7], v[8:9]
	s_waitcnt vmcnt(3)
	global_store_b64 v[29:30], v[21:22], off
	s_waitcnt vmcnt(2)
	global_store_b64 v[31:32], v[23:24], off
	global_load_b64 v[21:22], v[29:30], off
	v_fma_f64 v[29:30], -v[25:26], v[27:28], 1.0
	s_clause 0x1
	global_load_b64 v[39:40], v[10:11], off
	global_load_b64 v[41:42], v[12:13], off
	global_load_b32 v45, v[37:38], off
	global_store_b64 v[14:15], v[6:7], off
	v_fma_f64 v[27:28], v[27:28], v[29:30], v[27:28]
	s_delay_alu instid0(VALU_DEP_1) | instskip(NEXT) | instid1(VALU_DEP_1)
	v_fma_f64 v[29:30], -v[25:26], v[27:28], 1.0
	v_fma_f64 v[27:28], v[27:28], v[29:30], v[27:28]
	s_delay_alu instid0(VALU_DEP_1) | instskip(NEXT) | instid1(VALU_DEP_1)
	v_mul_f64 v[29:30], v[43:44], v[27:28]
	v_fma_f64 v[25:26], -v[25:26], v[29:30], v[43:44]
	s_delay_alu instid0(VALU_DEP_1) | instskip(NEXT) | instid1(VALU_DEP_1)
	v_div_fmas_f64 v[25:26], v[25:26], v[27:28], v[29:30]
	v_div_fixup_f64 v[8:9], v[25:26], v[6:7], v[8:9]
	v_dual_mov_b32 v16, s0 :: v_dual_add_nc_u32 v25, s17, v16
	s_delay_alu instid0(VALU_DEP_1) | instskip(NEXT) | instid1(VALU_DEP_1)
	v_ashrrev_i32_e32 v26, 31, v25
	v_lshlrev_b64 v[25:26], 2, v[25:26]
	s_delay_alu instid0(VALU_DEP_1) | instskip(NEXT) | instid1(VALU_DEP_2)
	v_add_co_u32 v6, vcc_lo, s10, v25
	v_add_co_ci_u32_e32 v7, vcc_lo, s11, v26, vcc_lo
	s_waitcnt vmcnt(4)
	v_fma_f64 v[23:24], -v[8:9], v[35:36], v[23:24]
	s_waitcnt vmcnt(3)
	v_fma_f64 v[21:22], -v[8:9], v[21:22], v[33:34]
	global_store_b32 v[37:38], v16, off
	global_store_b64 v[17:18], v[35:36], off
	s_waitcnt vmcnt(2)
	global_store_b64 v[12:13], v[39:40], off
	s_waitcnt vmcnt(1)
	;; [unrolled: 2-line block ×3, first 2 shown]
	global_store_b32 v[6:7], v45, off
	global_store_b64 v[4:5], v[8:9], off
	global_store_b64 v[19:20], v[21:22], off
	;; [unrolled: 1-line block ×3, first 2 shown]
	s_branch .LBB4_3
.LBB4_8:
	v_mov_b32_e32 v6, 0
	s_mov_b32 s0, 1
	s_branch .LBB4_11
.LBB4_9:                                ;   in Loop: Header=BB4_11 Depth=1
	s_or_b32 exec_lo, exec_lo, s10
	v_mad_u64_u32 v[6:7], null, s0, s18, v[1:2]
	s_delay_alu instid0(VALU_DEP_1) | instskip(NEXT) | instid1(VALU_DEP_1)
	v_ashrrev_i32_e32 v7, 31, v6
	v_lshlrev_b64 v[6:7], 3, v[6:7]
	s_delay_alu instid0(VALU_DEP_1) | instskip(NEXT) | instid1(VALU_DEP_2)
	v_add_co_u32 v8, vcc_lo, s2, v6
	v_add_co_ci_u32_e32 v9, vcc_lo, s3, v7, vcc_lo
	global_load_b64 v[6:7], v[8:9], off
	s_waitcnt vmcnt(0)
	v_add_f64 v[4:5], v[4:5], v[6:7]
	v_mov_b32_e32 v6, s0
	global_store_b64 v[8:9], v[4:5], off
.LBB4_10:                               ;   in Loop: Header=BB4_11 Depth=1
	s_or_b32 exec_lo, exec_lo, s1
	s_add_i32 s0, s0, 1
	s_delay_alu instid0(SALU_CYCLE_1)
	s_cmp_eq_u32 s0, s16
	s_cbranch_scc1 .LBB4_16
.LBB4_11:                               ; =>This Loop Header: Depth=1
                                        ;     Child Loop BB4_14 Depth 2
	s_mul_i32 s10, s0, s17
	s_mov_b32 s1, exec_lo
	s_ashr_i32 s11, s10, 31
	s_delay_alu instid0(SALU_CYCLE_1) | instskip(NEXT) | instid1(SALU_CYCLE_1)
	s_lshl_b64 s[10:11], s[10:11], 2
	v_add_co_u32 v4, vcc_lo, v2, s10
	v_add_co_ci_u32_e32 v5, vcc_lo, s11, v3, vcc_lo
	global_load_b32 v4, v[4:5], off
	s_waitcnt vmcnt(0)
	v_cmpx_ge_i32_e64 s0, v4
	s_cbranch_execz .LBB4_10
; %bb.12:                               ;   in Loop: Header=BB4_11 Depth=1
	v_mov_b32_e32 v4, 0
	v_mov_b32_e32 v5, 0
	s_mov_b32 s10, exec_lo
	v_cmpx_gt_i32_e64 s0, v6
	s_cbranch_execz .LBB4_9
; %bb.13:                               ;   in Loop: Header=BB4_11 Depth=1
	v_mul_lo_u32 v7, s18, v6
	v_dual_mov_b32 v4, 0 :: v_dual_mov_b32 v9, v1
	v_mov_b32_e32 v5, 0
	s_mov_b32 s11, 0
	s_delay_alu instid0(VALU_DEP_3)
	v_add_nc_u32_e32 v8, s18, v7
	.p2align	6
.LBB4_14:                               ;   Parent Loop BB4_11 Depth=1
                                        ; =>  This Inner Loop Header: Depth=2
	s_delay_alu instid0(VALU_DEP_1) | instskip(SKIP_3) | instid1(VALU_DEP_4)
	v_add_nc_u32_e32 v10, v8, v9
	v_add_nc_u32_e32 v12, v7, v9
	;; [unrolled: 1-line block ×4, first 2 shown]
	v_ashrrev_i32_e32 v11, 31, v10
	s_delay_alu instid0(VALU_DEP_4) | instskip(NEXT) | instid1(VALU_DEP_2)
	v_ashrrev_i32_e32 v13, 31, v12
	v_lshlrev_b64 v[10:11], 3, v[10:11]
	s_delay_alu instid0(VALU_DEP_2) | instskip(NEXT) | instid1(VALU_DEP_2)
	v_lshlrev_b64 v[12:13], 3, v[12:13]
	v_add_co_u32 v10, vcc_lo, s12, v10
	s_delay_alu instid0(VALU_DEP_3) | instskip(NEXT) | instid1(VALU_DEP_3)
	v_add_co_ci_u32_e32 v11, vcc_lo, s13, v11, vcc_lo
	v_add_co_u32 v12, vcc_lo, s2, v12
	s_delay_alu instid0(VALU_DEP_4)
	v_add_co_ci_u32_e32 v13, vcc_lo, s3, v13, vcc_lo
	v_cmp_le_i32_e32 vcc_lo, s0, v6
	global_load_b64 v[10:11], v[10:11], off
	global_load_b64 v[12:13], v[12:13], off
	s_or_b32 s11, vcc_lo, s11
	s_waitcnt vmcnt(0)
	v_fma_f64 v[4:5], -v[10:11], v[12:13], v[4:5]
	s_and_not1_b32 exec_lo, exec_lo, s11
	s_cbranch_execnz .LBB4_14
; %bb.15:                               ;   in Loop: Header=BB4_11 Depth=1
	s_or_b32 exec_lo, exec_lo, s11
	s_branch .LBB4_9
.LBB4_16:
	s_mul_i32 s15, s15, s18
	s_delay_alu instid0(SALU_CYCLE_1) | instskip(SKIP_2) | instid1(VALU_DEP_1)
	v_add_nc_u32_e32 v2, s15, v1
	s_sub_i32 s0, s15, s18
	s_cmp_lt_i32 s16, 3
	v_ashrrev_i32_e32 v3, 31, v2
	s_delay_alu instid0(VALU_DEP_1) | instskip(NEXT) | instid1(VALU_DEP_1)
	v_lshlrev_b64 v[2:3], 3, v[2:3]
	v_add_co_u32 v4, vcc_lo, s2, v2
	s_delay_alu instid0(VALU_DEP_2)
	v_add_co_ci_u32_e32 v5, vcc_lo, s3, v3, vcc_lo
	v_add_co_u32 v2, vcc_lo, s4, v2
	v_add_co_ci_u32_e32 v3, vcc_lo, s5, v3, vcc_lo
	global_load_b64 v[6:7], v[4:5], off
	global_load_b64 v[2:3], v[2:3], off
	s_waitcnt vmcnt(0)
	v_div_scale_f64 v[8:9], null, v[2:3], v[2:3], v[6:7]
	v_div_scale_f64 v[14:15], vcc_lo, v[6:7], v[2:3], v[6:7]
	s_delay_alu instid0(VALU_DEP_2) | instskip(SKIP_2) | instid1(VALU_DEP_1)
	v_rcp_f64_e32 v[10:11], v[8:9]
	s_waitcnt_depctr 0xfff
	v_fma_f64 v[12:13], -v[8:9], v[10:11], 1.0
	v_fma_f64 v[10:11], v[10:11], v[12:13], v[10:11]
	s_delay_alu instid0(VALU_DEP_1) | instskip(NEXT) | instid1(VALU_DEP_1)
	v_fma_f64 v[12:13], -v[8:9], v[10:11], 1.0
	v_fma_f64 v[10:11], v[10:11], v[12:13], v[10:11]
	s_delay_alu instid0(VALU_DEP_1) | instskip(NEXT) | instid1(VALU_DEP_1)
	v_mul_f64 v[12:13], v[14:15], v[10:11]
	v_fma_f64 v[8:9], -v[8:9], v[12:13], v[14:15]
	s_delay_alu instid0(VALU_DEP_1) | instskip(NEXT) | instid1(VALU_DEP_1)
	v_div_fmas_f64 v[8:9], v[8:9], v[10:11], v[12:13]
	v_div_fixup_f64 v[2:3], v[8:9], v[2:3], v[6:7]
	v_add_nc_u32_e32 v6, s0, v1
	s_delay_alu instid0(VALU_DEP_1) | instskip(NEXT) | instid1(VALU_DEP_1)
	v_ashrrev_i32_e32 v7, 31, v6
	v_lshlrev_b64 v[6:7], 3, v[6:7]
	s_delay_alu instid0(VALU_DEP_1) | instskip(NEXT) | instid1(VALU_DEP_2)
	v_add_co_u32 v8, vcc_lo, s6, v6
	v_add_co_ci_u32_e32 v9, vcc_lo, s7, v7, vcc_lo
	v_add_co_u32 v10, vcc_lo, s2, v6
	v_add_co_ci_u32_e32 v11, vcc_lo, s3, v7, vcc_lo
	global_load_b64 v[8:9], v[8:9], off
	v_add_co_u32 v6, vcc_lo, s4, v6
	v_add_co_ci_u32_e32 v7, vcc_lo, s5, v7, vcc_lo
	global_load_b64 v[6:7], v[6:7], off
	global_store_b64 v[4:5], v[2:3], off
	global_load_b64 v[4:5], v[10:11], off
	s_waitcnt vmcnt(0)
	v_fma_f64 v[2:3], -v[2:3], v[8:9], v[4:5]
	s_delay_alu instid0(VALU_DEP_1) | instskip(NEXT) | instid1(VALU_DEP_1)
	v_div_scale_f64 v[4:5], null, v[6:7], v[6:7], v[2:3]
	v_rcp_f64_e32 v[8:9], v[4:5]
	s_waitcnt_depctr 0xfff
	v_fma_f64 v[12:13], -v[4:5], v[8:9], 1.0
	s_delay_alu instid0(VALU_DEP_1) | instskip(NEXT) | instid1(VALU_DEP_1)
	v_fma_f64 v[8:9], v[8:9], v[12:13], v[8:9]
	v_fma_f64 v[12:13], -v[4:5], v[8:9], 1.0
	s_delay_alu instid0(VALU_DEP_1) | instskip(SKIP_1) | instid1(VALU_DEP_1)
	v_fma_f64 v[8:9], v[8:9], v[12:13], v[8:9]
	v_div_scale_f64 v[12:13], vcc_lo, v[2:3], v[6:7], v[2:3]
	v_mul_f64 v[14:15], v[12:13], v[8:9]
	s_delay_alu instid0(VALU_DEP_1) | instskip(NEXT) | instid1(VALU_DEP_1)
	v_fma_f64 v[4:5], -v[4:5], v[14:15], v[12:13]
	v_div_fmas_f64 v[4:5], v[4:5], v[8:9], v[14:15]
	s_delay_alu instid0(VALU_DEP_1)
	v_div_fixup_f64 v[2:3], v[4:5], v[6:7], v[2:3]
	global_store_b64 v[10:11], v[2:3], off
	s_cbranch_scc1 .LBB4_19
; %bb.17:
	s_add_i32 s10, s16, -3
	s_add_i32 s0, s16, -2
	s_mul_i32 s1, s17, s10
	s_mul_i32 s10, s18, s10
	v_add3_u32 v2, s14, s1, v0
	s_mul_i32 s1, s18, s0
.LBB4_18:                               ; =>This Inner Loop Header: Depth=1
	v_add_nc_u32_e32 v3, s10, v1
	v_add_nc_u32_e32 v5, s1, v1
	;; [unrolled: 1-line block ×3, first 2 shown]
	v_subrev_nc_u32_e32 v1, s18, v1
	s_add_i32 s0, s0, -1
	v_ashrrev_i32_e32 v4, 31, v3
	v_ashrrev_i32_e32 v6, 31, v5
	;; [unrolled: 1-line block ×3, first 2 shown]
	s_cmp_lg_u32 s0, 0
	s_delay_alu instid0(VALU_DEP_3) | instskip(NEXT) | instid1(VALU_DEP_3)
	v_lshlrev_b64 v[7:8], 3, v[3:4]
	v_lshlrev_b64 v[3:4], 3, v[5:6]
	s_delay_alu instid0(VALU_DEP_3) | instskip(NEXT) | instid1(VALU_DEP_3)
	v_lshlrev_b64 v[15:16], 3, v[15:16]
	v_add_co_u32 v5, vcc_lo, s2, v7
	s_delay_alu instid0(VALU_DEP_4)
	v_add_co_ci_u32_e32 v6, vcc_lo, s3, v8, vcc_lo
	v_add_co_u32 v9, vcc_lo, s6, v7
	v_add_co_ci_u32_e32 v10, vcc_lo, s7, v8, vcc_lo
	v_add_co_u32 v3, vcc_lo, s2, v3
	v_add_co_ci_u32_e32 v4, vcc_lo, s3, v4, vcc_lo
	global_load_b64 v[11:12], v[5:6], off
	global_load_b64 v[9:10], v[9:10], off
	;; [unrolled: 1-line block ×3, first 2 shown]
	v_ashrrev_i32_e32 v3, 31, v2
	s_delay_alu instid0(VALU_DEP_1) | instskip(SKIP_1) | instid1(VALU_DEP_2)
	v_lshlrev_b64 v[3:4], 3, v[2:3]
	v_subrev_nc_u32_e32 v2, s17, v2
	v_add_co_u32 v3, vcc_lo, s8, v3
	s_delay_alu instid0(VALU_DEP_3)
	v_add_co_ci_u32_e32 v4, vcc_lo, s9, v4, vcc_lo
	v_add_co_u32 v15, vcc_lo, s2, v15
	v_add_co_ci_u32_e32 v16, vcc_lo, s3, v16, vcc_lo
	global_load_b64 v[3:4], v[3:4], off
	global_load_b64 v[15:16], v[15:16], off
	v_add_co_u32 v7, vcc_lo, s4, v7
	v_add_co_ci_u32_e32 v8, vcc_lo, s5, v8, vcc_lo
	global_load_b64 v[7:8], v[7:8], off
	s_waitcnt vmcnt(3)
	v_fma_f64 v[9:10], -v[9:10], v[13:14], v[11:12]
	s_waitcnt vmcnt(1)
	s_delay_alu instid0(VALU_DEP_1) | instskip(SKIP_1) | instid1(VALU_DEP_1)
	v_fma_f64 v[3:4], -v[3:4], v[15:16], v[9:10]
	s_waitcnt vmcnt(0)
	v_div_scale_f64 v[9:10], null, v[7:8], v[7:8], v[3:4]
	v_div_scale_f64 v[15:16], vcc_lo, v[3:4], v[7:8], v[3:4]
	s_delay_alu instid0(VALU_DEP_2) | instskip(SKIP_2) | instid1(VALU_DEP_1)
	v_rcp_f64_e32 v[11:12], v[9:10]
	s_waitcnt_depctr 0xfff
	v_fma_f64 v[13:14], -v[9:10], v[11:12], 1.0
	v_fma_f64 v[11:12], v[11:12], v[13:14], v[11:12]
	s_delay_alu instid0(VALU_DEP_1) | instskip(NEXT) | instid1(VALU_DEP_1)
	v_fma_f64 v[13:14], -v[9:10], v[11:12], 1.0
	v_fma_f64 v[11:12], v[11:12], v[13:14], v[11:12]
	s_delay_alu instid0(VALU_DEP_1) | instskip(NEXT) | instid1(VALU_DEP_1)
	v_mul_f64 v[13:14], v[15:16], v[11:12]
	v_fma_f64 v[9:10], -v[9:10], v[13:14], v[15:16]
	s_delay_alu instid0(VALU_DEP_1) | instskip(NEXT) | instid1(VALU_DEP_1)
	v_div_fmas_f64 v[9:10], v[9:10], v[11:12], v[13:14]
	v_div_fixup_f64 v[3:4], v[9:10], v[7:8], v[3:4]
	global_store_b64 v[5:6], v[3:4], off
	s_cbranch_scc1 .LBB4_18
.LBB4_19:
	s_nop 0
	s_sendmsg sendmsg(MSG_DEALLOC_VGPRS)
	s_endpgm
	.section	.rodata,"a",@progbits
	.p2align	6, 0x0
	.amdhsa_kernel _ZN9rocsparseL32gtsv_interleaved_batch_lu_kernelILj128EdEEviiiPT0_S2_S2_S2_PiS2_
		.amdhsa_group_segment_fixed_size 0
		.amdhsa_private_segment_fixed_size 0
		.amdhsa_kernarg_size 64
		.amdhsa_user_sgpr_count 15
		.amdhsa_user_sgpr_dispatch_ptr 0
		.amdhsa_user_sgpr_queue_ptr 0
		.amdhsa_user_sgpr_kernarg_segment_ptr 1
		.amdhsa_user_sgpr_dispatch_id 0
		.amdhsa_user_sgpr_private_segment_size 0
		.amdhsa_wavefront_size32 1
		.amdhsa_uses_dynamic_stack 0
		.amdhsa_enable_private_segment 0
		.amdhsa_system_sgpr_workgroup_id_x 1
		.amdhsa_system_sgpr_workgroup_id_y 0
		.amdhsa_system_sgpr_workgroup_id_z 0
		.amdhsa_system_sgpr_workgroup_info 0
		.amdhsa_system_vgpr_workitem_id 0
		.amdhsa_next_free_vgpr 46
		.amdhsa_next_free_sgpr 22
		.amdhsa_reserve_vcc 1
		.amdhsa_float_round_mode_32 0
		.amdhsa_float_round_mode_16_64 0
		.amdhsa_float_denorm_mode_32 3
		.amdhsa_float_denorm_mode_16_64 3
		.amdhsa_dx10_clamp 1
		.amdhsa_ieee_mode 1
		.amdhsa_fp16_overflow 0
		.amdhsa_workgroup_processor_mode 1
		.amdhsa_memory_ordered 1
		.amdhsa_forward_progress 0
		.amdhsa_shared_vgpr_count 0
		.amdhsa_exception_fp_ieee_invalid_op 0
		.amdhsa_exception_fp_denorm_src 0
		.amdhsa_exception_fp_ieee_div_zero 0
		.amdhsa_exception_fp_ieee_overflow 0
		.amdhsa_exception_fp_ieee_underflow 0
		.amdhsa_exception_fp_ieee_inexact 0
		.amdhsa_exception_int_div_zero 0
	.end_amdhsa_kernel
	.section	.text._ZN9rocsparseL32gtsv_interleaved_batch_lu_kernelILj128EdEEviiiPT0_S2_S2_S2_PiS2_,"axG",@progbits,_ZN9rocsparseL32gtsv_interleaved_batch_lu_kernelILj128EdEEviiiPT0_S2_S2_S2_PiS2_,comdat
.Lfunc_end4:
	.size	_ZN9rocsparseL32gtsv_interleaved_batch_lu_kernelILj128EdEEviiiPT0_S2_S2_S2_PiS2_, .Lfunc_end4-_ZN9rocsparseL32gtsv_interleaved_batch_lu_kernelILj128EdEEviiiPT0_S2_S2_S2_PiS2_
                                        ; -- End function
	.section	.AMDGPU.csdata,"",@progbits
; Kernel info:
; codeLenInByte = 2300
; NumSgprs: 24
; NumVgprs: 46
; ScratchSize: 0
; MemoryBound: 0
; FloatMode: 240
; IeeeMode: 1
; LDSByteSize: 0 bytes/workgroup (compile time only)
; SGPRBlocks: 2
; VGPRBlocks: 5
; NumSGPRsForWavesPerEU: 24
; NumVGPRsForWavesPerEU: 46
; Occupancy: 16
; WaveLimiterHint : 0
; COMPUTE_PGM_RSRC2:SCRATCH_EN: 0
; COMPUTE_PGM_RSRC2:USER_SGPR: 15
; COMPUTE_PGM_RSRC2:TRAP_HANDLER: 0
; COMPUTE_PGM_RSRC2:TGID_X_EN: 1
; COMPUTE_PGM_RSRC2:TGID_Y_EN: 0
; COMPUTE_PGM_RSRC2:TGID_Z_EN: 0
; COMPUTE_PGM_RSRC2:TIDIG_COMP_CNT: 0
	.section	.text._ZN9rocsparseL32gtsv_interleaved_batch_qr_kernelILj128EdEEviiiPKT0_PS1_S4_S4_S4_,"axG",@progbits,_ZN9rocsparseL32gtsv_interleaved_batch_qr_kernelILj128EdEEviiiPKT0_PS1_S4_S4_S4_,comdat
	.globl	_ZN9rocsparseL32gtsv_interleaved_batch_qr_kernelILj128EdEEviiiPKT0_PS1_S4_S4_S4_ ; -- Begin function _ZN9rocsparseL32gtsv_interleaved_batch_qr_kernelILj128EdEEviiiPKT0_PS1_S4_S4_S4_
	.p2align	8
	.type	_ZN9rocsparseL32gtsv_interleaved_batch_qr_kernelILj128EdEEviiiPKT0_PS1_S4_S4_S4_,@function
_ZN9rocsparseL32gtsv_interleaved_batch_qr_kernelILj128EdEEviiiPKT0_PS1_S4_S4_S4_: ; @_ZN9rocsparseL32gtsv_interleaved_batch_qr_kernelILj128EdEEviiiPKT0_PS1_S4_S4_S4_
; %bb.0:
	s_load_b128 s[16:19], s[0:1], 0x0
	s_lshl_b32 s12, s15, 7
	s_mov_b32 s2, exec_lo
	v_or_b32_e32 v1, s12, v0
	s_waitcnt lgkmcnt(0)
	s_delay_alu instid0(VALU_DEP_1)
	v_cmpx_gt_i32_e64 s17, v1
	s_cbranch_execz .LBB5_7
; %bb.1:
	s_load_b256 s[4:11], s[0:1], 0x18
	s_add_i32 s13, s16, -1
	s_cmp_lt_i32 s16, 2
	s_cbranch_scc1 .LBB5_4
; %bb.2:
	v_ashrrev_i32_e32 v2, 31, v1
	s_load_b64 s[2:3], s[0:1], 0x10
	v_mov_b32_e32 v10, v1
	s_mov_b32 s1, s13
	s_delay_alu instid0(VALU_DEP_2) | instskip(SKIP_1) | instid1(VALU_DEP_1)
	v_lshlrev_b64 v[2:3], 3, v[1:2]
	s_waitcnt lgkmcnt(0)
	v_add_co_u32 v4, vcc_lo, s4, v2
	s_delay_alu instid0(VALU_DEP_2)
	v_add_co_ci_u32_e32 v5, vcc_lo, s5, v3, vcc_lo
	v_add_co_u32 v6, vcc_lo, s6, v2
	v_add_co_ci_u32_e32 v7, vcc_lo, s7, v3, vcc_lo
	v_add_co_u32 v8, vcc_lo, s10, v2
	v_add_co_ci_u32_e32 v9, vcc_lo, s11, v3, vcc_lo
	global_load_b64 v[2:3], v[4:5], off
	global_load_b64 v[4:5], v[6:7], off
	;; [unrolled: 1-line block ×3, first 2 shown]
	v_mov_b32_e32 v8, v1
.LBB5_3:                                ; =>This Inner Loop Header: Depth=1
	v_add_nc_u32_e32 v12, s18, v10
	s_waitcnt vmcnt(2)
	v_mul_f64 v[17:18], v[2:3], v[2:3]
	v_ashrrev_i32_e32 v11, 31, v10
	s_add_i32 s1, s1, -1
	s_delay_alu instid0(SALU_CYCLE_1) | instskip(SKIP_1) | instid1(VALU_DEP_1)
	s_cmp_eq_u32 s1, 0
	v_ashrrev_i32_e32 v13, 31, v12
	v_lshlrev_b64 v[13:14], 3, v[12:13]
	s_delay_alu instid0(VALU_DEP_1) | instskip(NEXT) | instid1(VALU_DEP_2)
	v_add_co_u32 v15, vcc_lo, s2, v13
	v_add_co_ci_u32_e32 v16, vcc_lo, s3, v14, vcc_lo
	global_load_b64 v[15:16], v[15:16], off
	s_waitcnt vmcnt(0)
	v_fma_f64 v[17:18], v[15:16], v[15:16], v[17:18]
	s_delay_alu instid0(VALU_DEP_1) | instskip(SKIP_1) | instid1(VALU_DEP_1)
	v_cmp_gt_f64_e32 vcc_lo, 0x10000000, v[17:18]
	v_cndmask_b32_e64 v9, 0, 1, vcc_lo
	v_lshlrev_b32_e32 v9, 8, v9
	s_delay_alu instid0(VALU_DEP_1) | instskip(SKIP_1) | instid1(VALU_DEP_2)
	v_ldexp_f64 v[17:18], v[17:18], v9
	v_cndmask_b32_e64 v9, 0, 0xffffff80, vcc_lo
	v_rsq_f64_e32 v[19:20], v[17:18]
	v_cmp_class_f64_e64 vcc_lo, v[17:18], 0x260
	s_waitcnt_depctr 0xfff
	v_mul_f64 v[21:22], v[17:18], v[19:20]
	v_mul_f64 v[19:20], v[19:20], 0.5
	s_delay_alu instid0(VALU_DEP_1) | instskip(NEXT) | instid1(VALU_DEP_1)
	v_fma_f64 v[23:24], -v[19:20], v[21:22], 0.5
	v_fma_f64 v[21:22], v[21:22], v[23:24], v[21:22]
	v_fma_f64 v[19:20], v[19:20], v[23:24], v[19:20]
	s_delay_alu instid0(VALU_DEP_2) | instskip(NEXT) | instid1(VALU_DEP_1)
	v_fma_f64 v[23:24], -v[21:22], v[21:22], v[17:18]
	v_fma_f64 v[21:22], v[23:24], v[19:20], v[21:22]
	s_delay_alu instid0(VALU_DEP_1) | instskip(NEXT) | instid1(VALU_DEP_1)
	v_fma_f64 v[23:24], -v[21:22], v[21:22], v[17:18]
	v_fma_f64 v[19:20], v[23:24], v[19:20], v[21:22]
	s_delay_alu instid0(VALU_DEP_1) | instskip(SKIP_1) | instid1(VALU_DEP_2)
	v_ldexp_f64 v[19:20], v[19:20], v9
	v_ashrrev_i32_e32 v9, 31, v8
	v_dual_cndmask_b32 v18, v20, v18 :: v_dual_cndmask_b32 v17, v19, v17
	v_add_co_u32 v27, vcc_lo, s4, v13
	v_add_co_ci_u32_e32 v28, vcc_lo, s5, v14, vcc_lo
	s_delay_alu instid0(VALU_DEP_3)
	v_div_scale_f64 v[19:20], null, v[17:18], v[17:18], v[2:3]
	v_div_scale_f64 v[21:22], null, v[17:18], v[17:18], v[15:16]
	v_add_co_u32 v29, vcc_lo, s10, v13
	v_add_co_ci_u32_e32 v30, vcc_lo, s11, v14, vcc_lo
	global_load_b64 v[31:32], v[27:28], off
	global_load_b64 v[33:34], v[29:30], off
	v_add_co_u32 v13, vcc_lo, s6, v13
	v_add_co_ci_u32_e32 v14, vcc_lo, s7, v14, vcc_lo
	v_div_scale_f64 v[41:42], vcc_lo, v[2:3], v[17:18], v[2:3]
	v_div_scale_f64 v[43:44], s0, v[15:16], v[17:18], v[15:16]
	global_load_b64 v[39:40], v[13:14], off
	v_rcp_f64_e32 v[23:24], v[19:20]
	v_rcp_f64_e32 v[25:26], v[21:22]
	s_waitcnt_depctr 0xfff
	v_fma_f64 v[35:36], -v[19:20], v[23:24], 1.0
	v_fma_f64 v[37:38], -v[21:22], v[25:26], 1.0
	s_delay_alu instid0(VALU_DEP_2) | instskip(NEXT) | instid1(VALU_DEP_2)
	v_fma_f64 v[23:24], v[23:24], v[35:36], v[23:24]
	v_fma_f64 v[25:26], v[25:26], v[37:38], v[25:26]
	s_delay_alu instid0(VALU_DEP_2) | instskip(NEXT) | instid1(VALU_DEP_2)
	v_fma_f64 v[35:36], -v[19:20], v[23:24], 1.0
	v_fma_f64 v[37:38], -v[21:22], v[25:26], 1.0
	s_delay_alu instid0(VALU_DEP_2) | instskip(NEXT) | instid1(VALU_DEP_2)
	v_fma_f64 v[23:24], v[23:24], v[35:36], v[23:24]
	v_fma_f64 v[25:26], v[25:26], v[37:38], v[25:26]
	s_delay_alu instid0(VALU_DEP_2) | instskip(NEXT) | instid1(VALU_DEP_2)
	v_mul_f64 v[35:36], v[41:42], v[23:24]
	v_mul_f64 v[37:38], v[43:44], v[25:26]
	s_delay_alu instid0(VALU_DEP_2) | instskip(NEXT) | instid1(VALU_DEP_2)
	v_fma_f64 v[19:20], -v[19:20], v[35:36], v[41:42]
	v_fma_f64 v[21:22], -v[21:22], v[37:38], v[43:44]
	s_delay_alu instid0(VALU_DEP_2) | instskip(SKIP_1) | instid1(VALU_DEP_2)
	v_div_fmas_f64 v[19:20], v[19:20], v[23:24], v[35:36]
	s_mov_b32 vcc_lo, s0
	v_div_fmas_f64 v[21:22], v[21:22], v[25:26], v[37:38]
	s_delay_alu instid0(VALU_DEP_2) | instskip(NEXT) | instid1(VALU_DEP_2)
	v_div_fixup_f64 v[19:20], v[19:20], v[17:18], v[2:3]
	v_div_fixup_f64 v[17:18], v[21:22], v[17:18], v[15:16]
	s_waitcnt vmcnt(2)
	s_delay_alu instid0(VALU_DEP_2) | instskip(SKIP_2) | instid1(VALU_DEP_3)
	v_mul_f64 v[21:22], v[31:32], v[19:20]
	s_waitcnt vmcnt(1)
	v_mul_f64 v[23:24], v[19:20], v[33:34]
	v_mul_f64 v[15:16], v[15:16], v[17:18]
	;; [unrolled: 1-line block ×4, first 2 shown]
	s_waitcnt vmcnt(0)
	v_mul_f64 v[33:34], v[39:40], v[17:18]
	s_delay_alu instid0(VALU_DEP_4)
	v_fma_f64 v[15:16], v[2:3], v[19:20], v[15:16]
	v_fma_f64 v[2:3], -v[4:5], v[17:18], v[21:22]
	v_fma_f64 v[21:22], v[4:5], v[19:20], v[25:26]
	v_mul_f64 v[4:5], v[39:40], v[19:20]
	v_fma_f64 v[19:20], v[6:7], v[19:20], v[31:32]
	v_fma_f64 v[6:7], -v[6:7], v[17:18], v[23:24]
	v_lshlrev_b64 v[17:18], 3, v[10:11]
	v_lshlrev_b64 v[23:24], 3, v[8:9]
	v_mov_b32_e32 v10, v12
	v_add_nc_u32_e32 v8, s17, v8
	s_delay_alu instid0(VALU_DEP_4)
	v_add_co_u32 v11, vcc_lo, s4, v17
	v_add_co_ci_u32_e32 v12, vcc_lo, s5, v18, vcc_lo
	v_add_co_u32 v25, vcc_lo, s6, v17
	v_add_co_ci_u32_e32 v26, vcc_lo, s7, v18, vcc_lo
	;; [unrolled: 2-line block ×4, first 2 shown]
	global_store_b64 v[23:24], v[33:34], off
	s_clause 0x1
	global_store_b64 v[11:12], v[15:16], off
	global_store_b64 v[27:28], v[2:3], off
	s_clause 0x1
	global_store_b64 v[25:26], v[21:22], off
	;; [unrolled: 3-line block ×3, first 2 shown]
	global_store_b64 v[29:30], v[6:7], off
	s_cbranch_scc0 .LBB5_3
.LBB5_4:
	s_mul_i32 s13, s13, s18
	s_delay_alu instid0(SALU_CYCLE_1) | instskip(SKIP_2) | instid1(VALU_DEP_1)
	v_add_nc_u32_e32 v2, s13, v1
	s_sub_i32 s0, s13, s18
	s_cmp_lt_i32 s16, 3
	v_ashrrev_i32_e32 v3, 31, v2
	s_delay_alu instid0(VALU_DEP_1) | instskip(SKIP_1) | instid1(VALU_DEP_1)
	v_lshlrev_b64 v[2:3], 3, v[2:3]
	s_waitcnt lgkmcnt(0)
	v_add_co_u32 v4, vcc_lo, s10, v2
	s_delay_alu instid0(VALU_DEP_2)
	v_add_co_ci_u32_e32 v5, vcc_lo, s11, v3, vcc_lo
	v_add_co_u32 v2, vcc_lo, s4, v2
	v_add_co_ci_u32_e32 v3, vcc_lo, s5, v3, vcc_lo
	global_load_b64 v[6:7], v[4:5], off
	global_load_b64 v[2:3], v[2:3], off
	s_waitcnt vmcnt(0)
	v_div_scale_f64 v[8:9], null, v[2:3], v[2:3], v[6:7]
	v_div_scale_f64 v[14:15], vcc_lo, v[6:7], v[2:3], v[6:7]
	s_delay_alu instid0(VALU_DEP_2) | instskip(SKIP_2) | instid1(VALU_DEP_1)
	v_rcp_f64_e32 v[10:11], v[8:9]
	s_waitcnt_depctr 0xfff
	v_fma_f64 v[12:13], -v[8:9], v[10:11], 1.0
	v_fma_f64 v[10:11], v[10:11], v[12:13], v[10:11]
	s_delay_alu instid0(VALU_DEP_1) | instskip(NEXT) | instid1(VALU_DEP_1)
	v_fma_f64 v[12:13], -v[8:9], v[10:11], 1.0
	v_fma_f64 v[10:11], v[10:11], v[12:13], v[10:11]
	s_delay_alu instid0(VALU_DEP_1) | instskip(NEXT) | instid1(VALU_DEP_1)
	v_mul_f64 v[12:13], v[14:15], v[10:11]
	v_fma_f64 v[8:9], -v[8:9], v[12:13], v[14:15]
	s_delay_alu instid0(VALU_DEP_1) | instskip(NEXT) | instid1(VALU_DEP_1)
	v_div_fmas_f64 v[8:9], v[8:9], v[10:11], v[12:13]
	v_div_fixup_f64 v[2:3], v[8:9], v[2:3], v[6:7]
	v_add_nc_u32_e32 v6, s0, v1
	s_delay_alu instid0(VALU_DEP_1) | instskip(NEXT) | instid1(VALU_DEP_1)
	v_ashrrev_i32_e32 v7, 31, v6
	v_lshlrev_b64 v[6:7], 3, v[6:7]
	s_delay_alu instid0(VALU_DEP_1) | instskip(NEXT) | instid1(VALU_DEP_2)
	v_add_co_u32 v8, vcc_lo, s6, v6
	v_add_co_ci_u32_e32 v9, vcc_lo, s7, v7, vcc_lo
	v_add_co_u32 v10, vcc_lo, s10, v6
	v_add_co_ci_u32_e32 v11, vcc_lo, s11, v7, vcc_lo
	global_load_b64 v[8:9], v[8:9], off
	v_add_co_u32 v6, vcc_lo, s4, v6
	v_add_co_ci_u32_e32 v7, vcc_lo, s5, v7, vcc_lo
	global_load_b64 v[6:7], v[6:7], off
	global_store_b64 v[4:5], v[2:3], off
	global_load_b64 v[4:5], v[10:11], off
	s_waitcnt vmcnt(0)
	v_fma_f64 v[2:3], -v[2:3], v[8:9], v[4:5]
	s_delay_alu instid0(VALU_DEP_1) | instskip(NEXT) | instid1(VALU_DEP_1)
	v_div_scale_f64 v[4:5], null, v[6:7], v[6:7], v[2:3]
	v_rcp_f64_e32 v[8:9], v[4:5]
	s_waitcnt_depctr 0xfff
	v_fma_f64 v[12:13], -v[4:5], v[8:9], 1.0
	s_delay_alu instid0(VALU_DEP_1) | instskip(NEXT) | instid1(VALU_DEP_1)
	v_fma_f64 v[8:9], v[8:9], v[12:13], v[8:9]
	v_fma_f64 v[12:13], -v[4:5], v[8:9], 1.0
	s_delay_alu instid0(VALU_DEP_1) | instskip(SKIP_1) | instid1(VALU_DEP_1)
	v_fma_f64 v[8:9], v[8:9], v[12:13], v[8:9]
	v_div_scale_f64 v[12:13], vcc_lo, v[2:3], v[6:7], v[2:3]
	v_mul_f64 v[14:15], v[12:13], v[8:9]
	s_delay_alu instid0(VALU_DEP_1) | instskip(NEXT) | instid1(VALU_DEP_1)
	v_fma_f64 v[4:5], -v[4:5], v[14:15], v[12:13]
	v_div_fmas_f64 v[4:5], v[4:5], v[8:9], v[14:15]
	s_delay_alu instid0(VALU_DEP_1)
	v_div_fixup_f64 v[2:3], v[4:5], v[6:7], v[2:3]
	global_store_b64 v[10:11], v[2:3], off
	s_cbranch_scc1 .LBB5_7
; %bb.5:
	s_add_i32 s2, s16, -3
	s_add_i32 s0, s16, -2
	s_mul_i32 s1, s17, s2
	s_mul_i32 s2, s18, s2
	v_add3_u32 v2, s12, s1, v0
	s_mul_i32 s1, s18, s0
.LBB5_6:                                ; =>This Inner Loop Header: Depth=1
	v_add_nc_u32_e32 v3, s2, v1
	v_add_nc_u32_e32 v5, s1, v1
	;; [unrolled: 1-line block ×3, first 2 shown]
	v_subrev_nc_u32_e32 v1, s18, v1
	s_add_i32 s0, s0, -1
	v_ashrrev_i32_e32 v4, 31, v3
	v_ashrrev_i32_e32 v6, 31, v5
	;; [unrolled: 1-line block ×3, first 2 shown]
	s_cmp_lg_u32 s0, 0
	s_delay_alu instid0(VALU_DEP_3) | instskip(NEXT) | instid1(VALU_DEP_3)
	v_lshlrev_b64 v[7:8], 3, v[3:4]
	v_lshlrev_b64 v[3:4], 3, v[5:6]
	s_delay_alu instid0(VALU_DEP_3) | instskip(NEXT) | instid1(VALU_DEP_3)
	v_lshlrev_b64 v[15:16], 3, v[15:16]
	v_add_co_u32 v5, vcc_lo, s10, v7
	s_delay_alu instid0(VALU_DEP_4)
	v_add_co_ci_u32_e32 v6, vcc_lo, s11, v8, vcc_lo
	v_add_co_u32 v9, vcc_lo, s6, v7
	v_add_co_ci_u32_e32 v10, vcc_lo, s7, v8, vcc_lo
	v_add_co_u32 v3, vcc_lo, s10, v3
	v_add_co_ci_u32_e32 v4, vcc_lo, s11, v4, vcc_lo
	global_load_b64 v[11:12], v[5:6], off
	global_load_b64 v[9:10], v[9:10], off
	;; [unrolled: 1-line block ×3, first 2 shown]
	v_ashrrev_i32_e32 v3, 31, v2
	s_delay_alu instid0(VALU_DEP_1) | instskip(SKIP_1) | instid1(VALU_DEP_2)
	v_lshlrev_b64 v[3:4], 3, v[2:3]
	v_subrev_nc_u32_e32 v2, s17, v2
	v_add_co_u32 v3, vcc_lo, s8, v3
	s_delay_alu instid0(VALU_DEP_3)
	v_add_co_ci_u32_e32 v4, vcc_lo, s9, v4, vcc_lo
	v_add_co_u32 v15, vcc_lo, s10, v15
	v_add_co_ci_u32_e32 v16, vcc_lo, s11, v16, vcc_lo
	global_load_b64 v[3:4], v[3:4], off
	global_load_b64 v[15:16], v[15:16], off
	v_add_co_u32 v7, vcc_lo, s4, v7
	v_add_co_ci_u32_e32 v8, vcc_lo, s5, v8, vcc_lo
	global_load_b64 v[7:8], v[7:8], off
	s_waitcnt vmcnt(3)
	v_fma_f64 v[9:10], -v[9:10], v[13:14], v[11:12]
	s_waitcnt vmcnt(1)
	s_delay_alu instid0(VALU_DEP_1) | instskip(SKIP_1) | instid1(VALU_DEP_1)
	v_fma_f64 v[3:4], -v[3:4], v[15:16], v[9:10]
	s_waitcnt vmcnt(0)
	v_div_scale_f64 v[9:10], null, v[7:8], v[7:8], v[3:4]
	v_div_scale_f64 v[15:16], vcc_lo, v[3:4], v[7:8], v[3:4]
	s_delay_alu instid0(VALU_DEP_2) | instskip(SKIP_2) | instid1(VALU_DEP_1)
	v_rcp_f64_e32 v[11:12], v[9:10]
	s_waitcnt_depctr 0xfff
	v_fma_f64 v[13:14], -v[9:10], v[11:12], 1.0
	v_fma_f64 v[11:12], v[11:12], v[13:14], v[11:12]
	s_delay_alu instid0(VALU_DEP_1) | instskip(NEXT) | instid1(VALU_DEP_1)
	v_fma_f64 v[13:14], -v[9:10], v[11:12], 1.0
	v_fma_f64 v[11:12], v[11:12], v[13:14], v[11:12]
	s_delay_alu instid0(VALU_DEP_1) | instskip(NEXT) | instid1(VALU_DEP_1)
	v_mul_f64 v[13:14], v[15:16], v[11:12]
	v_fma_f64 v[9:10], -v[9:10], v[13:14], v[15:16]
	s_delay_alu instid0(VALU_DEP_1) | instskip(NEXT) | instid1(VALU_DEP_1)
	v_div_fmas_f64 v[9:10], v[9:10], v[11:12], v[13:14]
	v_div_fixup_f64 v[3:4], v[9:10], v[7:8], v[3:4]
	global_store_b64 v[5:6], v[3:4], off
	s_cbranch_scc1 .LBB5_6
.LBB5_7:
	s_nop 0
	s_sendmsg sendmsg(MSG_DEALLOC_VGPRS)
	s_endpgm
	.section	.rodata,"a",@progbits
	.p2align	6, 0x0
	.amdhsa_kernel _ZN9rocsparseL32gtsv_interleaved_batch_qr_kernelILj128EdEEviiiPKT0_PS1_S4_S4_S4_
		.amdhsa_group_segment_fixed_size 0
		.amdhsa_private_segment_fixed_size 0
		.amdhsa_kernarg_size 56
		.amdhsa_user_sgpr_count 15
		.amdhsa_user_sgpr_dispatch_ptr 0
		.amdhsa_user_sgpr_queue_ptr 0
		.amdhsa_user_sgpr_kernarg_segment_ptr 1
		.amdhsa_user_sgpr_dispatch_id 0
		.amdhsa_user_sgpr_private_segment_size 0
		.amdhsa_wavefront_size32 1
		.amdhsa_uses_dynamic_stack 0
		.amdhsa_enable_private_segment 0
		.amdhsa_system_sgpr_workgroup_id_x 1
		.amdhsa_system_sgpr_workgroup_id_y 0
		.amdhsa_system_sgpr_workgroup_id_z 0
		.amdhsa_system_sgpr_workgroup_info 0
		.amdhsa_system_vgpr_workitem_id 0
		.amdhsa_next_free_vgpr 45
		.amdhsa_next_free_sgpr 20
		.amdhsa_reserve_vcc 1
		.amdhsa_float_round_mode_32 0
		.amdhsa_float_round_mode_16_64 0
		.amdhsa_float_denorm_mode_32 3
		.amdhsa_float_denorm_mode_16_64 3
		.amdhsa_dx10_clamp 1
		.amdhsa_ieee_mode 1
		.amdhsa_fp16_overflow 0
		.amdhsa_workgroup_processor_mode 1
		.amdhsa_memory_ordered 1
		.amdhsa_forward_progress 0
		.amdhsa_shared_vgpr_count 0
		.amdhsa_exception_fp_ieee_invalid_op 0
		.amdhsa_exception_fp_denorm_src 0
		.amdhsa_exception_fp_ieee_div_zero 0
		.amdhsa_exception_fp_ieee_overflow 0
		.amdhsa_exception_fp_ieee_underflow 0
		.amdhsa_exception_fp_ieee_inexact 0
		.amdhsa_exception_int_div_zero 0
	.end_amdhsa_kernel
	.section	.text._ZN9rocsparseL32gtsv_interleaved_batch_qr_kernelILj128EdEEviiiPKT0_PS1_S4_S4_S4_,"axG",@progbits,_ZN9rocsparseL32gtsv_interleaved_batch_qr_kernelILj128EdEEviiiPKT0_PS1_S4_S4_S4_,comdat
.Lfunc_end5:
	.size	_ZN9rocsparseL32gtsv_interleaved_batch_qr_kernelILj128EdEEviiiPKT0_PS1_S4_S4_S4_, .Lfunc_end5-_ZN9rocsparseL32gtsv_interleaved_batch_qr_kernelILj128EdEEviiiPKT0_PS1_S4_S4_S4_
                                        ; -- End function
	.section	.AMDGPU.csdata,"",@progbits
; Kernel info:
; codeLenInByte = 1772
; NumSgprs: 22
; NumVgprs: 45
; ScratchSize: 0
; MemoryBound: 0
; FloatMode: 240
; IeeeMode: 1
; LDSByteSize: 0 bytes/workgroup (compile time only)
; SGPRBlocks: 2
; VGPRBlocks: 5
; NumSGPRsForWavesPerEU: 22
; NumVGPRsForWavesPerEU: 45
; Occupancy: 16
; WaveLimiterHint : 0
; COMPUTE_PGM_RSRC2:SCRATCH_EN: 0
; COMPUTE_PGM_RSRC2:USER_SGPR: 15
; COMPUTE_PGM_RSRC2:TRAP_HANDLER: 0
; COMPUTE_PGM_RSRC2:TGID_X_EN: 1
; COMPUTE_PGM_RSRC2:TGID_Y_EN: 0
; COMPUTE_PGM_RSRC2:TGID_Z_EN: 0
; COMPUTE_PGM_RSRC2:TIDIG_COMP_CNT: 0
	.section	.text._ZN9rocsparseL36gtsv_interleaved_batch_thomas_kernelILj128E21rocsparse_complex_numIfEEEviiiPKT0_S5_S5_PS3_S6_S6_,"axG",@progbits,_ZN9rocsparseL36gtsv_interleaved_batch_thomas_kernelILj128E21rocsparse_complex_numIfEEEviiiPKT0_S5_S5_PS3_S6_S6_,comdat
	.globl	_ZN9rocsparseL36gtsv_interleaved_batch_thomas_kernelILj128E21rocsparse_complex_numIfEEEviiiPKT0_S5_S5_PS3_S6_S6_ ; -- Begin function _ZN9rocsparseL36gtsv_interleaved_batch_thomas_kernelILj128E21rocsparse_complex_numIfEEEviiiPKT0_S5_S5_PS3_S6_S6_
	.p2align	8
	.type	_ZN9rocsparseL36gtsv_interleaved_batch_thomas_kernelILj128E21rocsparse_complex_numIfEEEviiiPKT0_S5_S5_PS3_S6_S6_,@function
_ZN9rocsparseL36gtsv_interleaved_batch_thomas_kernelILj128E21rocsparse_complex_numIfEEEviiiPKT0_S5_S5_PS3_S6_S6_: ; @_ZN9rocsparseL36gtsv_interleaved_batch_thomas_kernelILj128E21rocsparse_complex_numIfEEEviiiPKT0_S5_S5_PS3_S6_S6_
; %bb.0:
	s_load_b128 s[16:19], s[0:1], 0x0
	s_lshl_b32 s20, s15, 7
	s_mov_b32 s2, exec_lo
	v_or_b32_e32 v1, s20, v0
	s_waitcnt lgkmcnt(0)
	s_delay_alu instid0(VALU_DEP_1)
	v_cmpx_gt_i32_e64 s17, v1
	s_cbranch_execz .LBB6_9
; %bb.1:
	s_load_b256 s[4:11], s[0:1], 0x18
	v_ashrrev_i32_e32 v2, 31, v1
	s_load_b64 s[12:13], s[0:1], 0x38
	s_cmp_gt_i32 s16, 1
	s_cselect_b32 s24, -1, 0
	s_delay_alu instid0(VALU_DEP_1) | instskip(SKIP_1) | instid1(VALU_DEP_1)
	v_lshlrev_b64 v[8:9], 3, v[1:2]
	s_waitcnt lgkmcnt(0)
	v_add_co_u32 v1, vcc_lo, s4, v8
	s_delay_alu instid0(VALU_DEP_2)
	v_add_co_ci_u32_e32 v2, vcc_lo, s5, v9, vcc_lo
	v_add_co_u32 v3, vcc_lo, s6, v8
	v_add_co_ci_u32_e32 v4, vcc_lo, s7, v9, vcc_lo
	global_load_b64 v[5:6], v[1:2], off
	v_add_co_u32 v1, vcc_lo, s12, v8
	v_add_co_ci_u32_e32 v2, vcc_lo, s13, v9, vcc_lo
	global_load_b64 v[10:11], v[3:4], off
	global_load_b64 v[12:13], v[1:2], off
	s_waitcnt vmcnt(2)
	v_mul_f32_e32 v7, v6, v6
	s_waitcnt vmcnt(1)
	s_delay_alu instid0(VALU_DEP_1) | instskip(SKIP_3) | instid1(VALU_DEP_3)
	v_dual_fmac_f32 v7, v5, v5 :: v_dual_mul_f32 v18, v6, v11
	s_waitcnt vmcnt(0)
	v_mul_f32_e64 v20, v6, -v12
	v_mul_f32_e64 v19, v6, -v10
	v_div_scale_f32 v14, null, v7, v7, 1.0
	v_div_scale_f32 v16, vcc_lo, 1.0, v7, 1.0
	s_delay_alu instid0(VALU_DEP_3) | instskip(NEXT) | instid1(VALU_DEP_3)
	v_fmac_f32_e32 v19, v11, v5
	v_rcp_f32_e32 v15, v14
	v_fmac_f32_e32 v18, v10, v5
	v_fmac_f32_e32 v20, v13, v5
	s_waitcnt_depctr 0xfff
	v_fma_f32 v3, -v14, v15, 1.0
	s_delay_alu instid0(VALU_DEP_1) | instskip(NEXT) | instid1(VALU_DEP_1)
	v_fmac_f32_e32 v15, v3, v15
	v_mul_f32_e32 v17, v16, v15
	s_delay_alu instid0(VALU_DEP_1) | instskip(NEXT) | instid1(VALU_DEP_1)
	v_fma_f32 v3, -v14, v17, v16
	v_fmac_f32_e32 v17, v3, v15
	v_add_co_u32 v3, s2, s8, v8
	s_delay_alu instid0(VALU_DEP_1) | instskip(NEXT) | instid1(VALU_DEP_3)
	v_add_co_ci_u32_e64 v4, s2, s9, v9, s2
	v_fma_f32 v14, -v14, v17, v16
	v_mul_f32_e32 v16, v6, v13
	s_delay_alu instid0(VALU_DEP_2) | instskip(NEXT) | instid1(VALU_DEP_2)
	v_div_fmas_f32 v6, v14, v15, v17
	v_fmac_f32_e32 v16, v12, v5
	v_add_co_u32 v5, vcc_lo, s10, v8
	s_delay_alu instid0(VALU_DEP_3) | instskip(SKIP_2) | instid1(VALU_DEP_2)
	v_div_fixup_f32 v7, v6, v7, 1.0
	v_add_co_ci_u32_e32 v6, vcc_lo, s11, v9, vcc_lo
	s_and_b32 vcc_lo, exec_lo, s24
	v_mul_f32_e32 v10, v7, v18
	v_mul_f32_e32 v11, v19, v7
	;; [unrolled: 1-line block ×4, first 2 shown]
	global_store_b64 v[3:4], v[10:11], off
	global_store_b64 v[5:6], v[12:13], off
	s_cbranch_vccnz .LBB6_3
; %bb.2:
	s_add_i32 s19, s16, -1
	s_cbranch_execz .LBB6_4
	s_branch .LBB6_6
.LBB6_3:
                                        ; implicit-def: $sgpr19
.LBB6_4:
	s_load_b64 s[2:3], s[0:1], 0x10
	s_ashr_i32 s19, s18, 31
	s_ashr_i32 s1, s17, 31
	s_lshl_b64 s[14:15], s[18:19], 3
	s_mov_b32 s0, s17
	v_add_co_u32 v10, vcc_lo, s14, v8
	v_add3_u32 v7, s20, s18, v0
	s_lshl_b64 s[20:21], s[0:1], 3
	v_add_co_ci_u32_e32 v11, vcc_lo, s15, v9, vcc_lo
	v_add_co_u32 v0, vcc_lo, s20, v8
	v_add_co_ci_u32_e32 v9, vcc_lo, s21, v9, vcc_lo
	s_add_i32 s19, s16, -1
	s_mov_b32 s22, 0
	s_mov_b32 s1, s19
.LBB6_5:                                ; =>This Inner Loop Header: Depth=1
	v_ashrrev_i32_e32 v8, 31, v7
	s_ashr_i32 s23, s22, 31
	s_add_i32 s1, s1, -1
	s_lshl_b64 s[26:27], s[22:23], 3
	s_add_i32 s22, s22, s17
	v_lshlrev_b64 v[14:15], 3, v[7:8]
	v_add_co_u32 v12, vcc_lo, v3, s26
	v_add_co_ci_u32_e32 v13, vcc_lo, s27, v4, vcc_lo
	s_cmp_eq_u32 s1, 0
	s_waitcnt lgkmcnt(0)
	s_delay_alu instid0(VALU_DEP_3)
	v_add_co_u32 v14, vcc_lo, s2, v14
	v_add_co_ci_u32_e32 v15, vcc_lo, s3, v15, vcc_lo
	v_add_co_u32 v18, vcc_lo, s4, v10
	global_load_b64 v[16:17], v[12:13], off
	global_load_b64 v[14:15], v[14:15], off
	v_add_co_ci_u32_e32 v19, vcc_lo, s5, v11, vcc_lo
	v_add_co_u32 v20, vcc_lo, s6, v10
	v_add_co_ci_u32_e32 v21, vcc_lo, s7, v11, vcc_lo
	global_load_b64 v[18:19], v[18:19], off
	v_add_nc_u32_e32 v7, s18, v7
	global_load_b64 v[20:21], v[20:21], off
	s_waitcnt vmcnt(2)
	v_mul_f32_e64 v22, v15, -v17
	s_delay_alu instid0(VALU_DEP_1) | instskip(SKIP_1) | instid1(VALU_DEP_1)
	v_fmac_f32_e32 v22, v16, v14
	v_mul_f32_e32 v8, v15, v16
	v_fmac_f32_e32 v8, v17, v14
	s_waitcnt vmcnt(1)
	s_delay_alu instid0(VALU_DEP_1) | instskip(NEXT) | instid1(VALU_DEP_1)
	v_dual_sub_f32 v17, v18, v22 :: v_dual_sub_f32 v8, v19, v8
	v_mul_f32_e32 v22, v8, v8
	s_delay_alu instid0(VALU_DEP_1) | instskip(NEXT) | instid1(VALU_DEP_1)
	v_fmac_f32_e32 v22, v17, v17
	v_div_scale_f32 v23, null, v22, v22, 1.0
	v_div_scale_f32 v25, vcc_lo, 1.0, v22, 1.0
	s_delay_alu instid0(VALU_DEP_2) | instskip(SKIP_2) | instid1(VALU_DEP_1)
	v_rcp_f32_e32 v24, v23
	s_waitcnt_depctr 0xfff
	v_fma_f32 v16, -v23, v24, 1.0
	v_fmac_f32_e32 v24, v16, v24
	v_add_co_u32 v16, s0, s8, v0
	s_delay_alu instid0(VALU_DEP_2) | instskip(NEXT) | instid1(VALU_DEP_1)
	v_mul_f32_e32 v26, v25, v24
	v_fma_f32 v27, -v23, v26, v25
	s_waitcnt vmcnt(0)
	s_delay_alu instid0(VALU_DEP_1) | instskip(SKIP_1) | instid1(VALU_DEP_2)
	v_dual_fmac_f32 v26, v27, v24 :: v_dual_mul_f32 v27, v8, v21
	v_mul_f32_e64 v8, v8, -v20
	v_fma_f32 v23, -v23, v26, v25
	s_delay_alu instid0(VALU_DEP_3) | instskip(NEXT) | instid1(VALU_DEP_3)
	v_fmac_f32_e32 v27, v20, v17
	v_fmac_f32_e32 v8, v21, v17
	s_delay_alu instid0(VALU_DEP_3) | instskip(SKIP_1) | instid1(VALU_DEP_2)
	v_div_fmas_f32 v23, v23, v24, v26
	v_add_co_ci_u32_e64 v17, vcc_lo, s9, v9, s0
	v_div_fixup_f32 v21, v23, v22, 1.0
	s_delay_alu instid0(VALU_DEP_1) | instskip(SKIP_4) | instid1(VALU_DEP_1)
	v_mul_f32_e32 v20, v27, v21
	v_mul_f32_e32 v21, v8, v21
	global_store_b64 v[16:17], v[20:21], off
	global_load_b64 v[12:13], v[12:13], off
	v_add_co_u32 v20, s0, v5, s26
	v_add_co_ci_u32_e64 v21, s0, s27, v6, s0
	v_add_co_u32 v16, vcc_lo, s12, v10
	v_add_co_ci_u32_e32 v17, vcc_lo, s13, v11, vcc_lo
	global_load_b64 v[20:21], v[20:21], off
	v_add_co_u32 v10, s0, v10, s14
	global_load_b64 v[16:17], v[16:17], off
	s_waitcnt vmcnt(2)
	v_mul_f32_e32 v8, v15, v12
	v_mul_f32_e64 v22, v15, -v13
	s_delay_alu instid0(VALU_DEP_2) | instskip(NEXT) | instid1(VALU_DEP_2)
	v_fmac_f32_e32 v8, v13, v14
	v_fmac_f32_e32 v22, v12, v14
	v_add_co_u32 v12, vcc_lo, s10, v0
	v_add_co_ci_u32_e32 v13, vcc_lo, s11, v9, vcc_lo
	s_delay_alu instid0(VALU_DEP_4) | instskip(NEXT) | instid1(VALU_DEP_1)
	v_sub_f32_e32 v8, v19, v8
	v_dual_sub_f32 v18, v18, v22 :: v_dual_mul_f32 v19, v8, v8
	s_delay_alu instid0(VALU_DEP_1) | instskip(NEXT) | instid1(VALU_DEP_1)
	v_fmac_f32_e32 v19, v18, v18
	v_div_scale_f32 v22, null, v19, v19, 1.0
	v_div_scale_f32 v25, vcc_lo, 1.0, v19, 1.0
	s_delay_alu instid0(VALU_DEP_2) | instskip(SKIP_3) | instid1(VALU_DEP_1)
	v_rcp_f32_e32 v23, v22
	s_waitcnt_depctr 0xfff
	v_fma_f32 v24, -v22, v23, 1.0
	s_waitcnt vmcnt(1)
	v_dual_fmac_f32 v23, v24, v23 :: v_dual_mul_f32 v24, v15, v20
	v_mul_f32_e64 v15, v15, -v21
	s_delay_alu instid0(VALU_DEP_2) | instskip(NEXT) | instid1(VALU_DEP_3)
	v_mul_f32_e32 v26, v25, v23
	v_fmac_f32_e32 v24, v21, v14
	s_delay_alu instid0(VALU_DEP_3) | instskip(NEXT) | instid1(VALU_DEP_3)
	v_fmac_f32_e32 v15, v20, v14
	v_fma_f32 v21, -v22, v26, v25
	s_waitcnt vmcnt(0)
	s_delay_alu instid0(VALU_DEP_2) | instskip(NEXT) | instid1(VALU_DEP_2)
	v_dual_sub_f32 v14, v17, v24 :: v_dual_sub_f32 v15, v16, v15
	v_fmac_f32_e32 v26, v21, v23
	s_delay_alu instid0(VALU_DEP_2) | instskip(NEXT) | instid1(VALU_DEP_3)
	v_mul_f32_e32 v16, v14, v8
	v_mul_f32_e64 v8, v8, -v15
	s_delay_alu instid0(VALU_DEP_3) | instskip(NEXT) | instid1(VALU_DEP_3)
	v_fma_f32 v17, -v22, v26, v25
	v_fmac_f32_e32 v16, v15, v18
	s_delay_alu instid0(VALU_DEP_3) | instskip(NEXT) | instid1(VALU_DEP_3)
	v_fmac_f32_e32 v8, v14, v18
	v_div_fmas_f32 v17, v17, v23, v26
	v_add_co_ci_u32_e64 v11, vcc_lo, s15, v11, s0
	v_add_co_u32 v0, vcc_lo, v0, s20
	s_delay_alu instid0(VALU_DEP_3) | instskip(SKIP_1) | instid1(VALU_DEP_2)
	v_div_fixup_f32 v15, v17, v19, 1.0
	v_add_co_ci_u32_e32 v9, vcc_lo, s21, v9, vcc_lo
	v_mul_f32_e32 v14, v16, v15
	v_mul_f32_e32 v15, v8, v15
	global_store_b64 v[12:13], v[14:15], off
	s_cbranch_scc0 .LBB6_5
.LBB6_6:
	s_mul_i32 s0, s19, s17
	s_delay_alu instid0(SALU_CYCLE_1) | instskip(NEXT) | instid1(SALU_CYCLE_1)
	s_ashr_i32 s1, s0, 31
	s_lshl_b64 s[0:1], s[0:1], 3
	s_delay_alu instid0(SALU_CYCLE_1) | instskip(SKIP_2) | instid1(SALU_CYCLE_1)
	v_add_co_u32 v7, vcc_lo, v5, s0
	v_add_co_ci_u32_e32 v8, vcc_lo, s1, v6, vcc_lo
	s_mul_i32 s0, s19, s18
	s_ashr_i32 s1, s0, 31
	global_load_b64 v[7:8], v[7:8], off
	s_lshl_b64 s[2:3], s[0:1], 3
	s_delay_alu instid0(SALU_CYCLE_1)
	v_add_co_u32 v9, vcc_lo, v1, s2
	v_add_co_ci_u32_e32 v10, vcc_lo, s3, v2, vcc_lo
	s_and_not1_b32 vcc_lo, exec_lo, s24
	s_waitcnt vmcnt(0)
	global_store_b64 v[9:10], v[7:8], off
	s_cbranch_vccnz .LBB6_9
; %bb.7:
	s_add_i32 s2, s16, -2
	s_mov_b32 s4, 0
	s_mul_i32 s1, s18, s2
	s_mul_i32 s2, s17, s2
	s_set_inst_prefetch_distance 0x1
	.p2align	6
.LBB6_8:                                ; =>This Inner Loop Header: Depth=1
	s_ashr_i32 s3, s2, 31
	s_add_i32 s6, s0, s4
	s_lshl_b64 s[8:9], s[2:3], 3
	s_ashr_i32 s7, s6, 31
	v_add_co_u32 v7, vcc_lo, v3, s8
	s_lshl_b64 s[6:7], s[6:7], 3
	v_add_co_ci_u32_e32 v8, vcc_lo, s9, v4, vcc_lo
	v_add_co_u32 v9, vcc_lo, v1, s6
	v_add_co_ci_u32_e32 v10, vcc_lo, s7, v2, vcc_lo
	global_load_b64 v[7:8], v[7:8], off
	global_load_b64 v[9:10], v[9:10], off
	v_add_co_u32 v11, vcc_lo, v5, s8
	v_add_co_ci_u32_e32 v12, vcc_lo, s9, v6, vcc_lo
	s_add_i32 s6, s1, s4
	s_add_i32 s19, s19, -1
	s_ashr_i32 s7, s6, 31
	global_load_b64 v[11:12], v[11:12], off
	s_lshl_b64 s[6:7], s[6:7], 3
	s_sub_i32 s4, s4, s18
	s_sub_i32 s2, s2, s17
	s_cmp_lg_u32 s19, 0
	s_waitcnt vmcnt(1)
	v_mul_f32_e64 v0, v10, -v8
	s_delay_alu instid0(VALU_DEP_1) | instskip(SKIP_3) | instid1(VALU_DEP_2)
	v_fmac_f32_e32 v0, v7, v9
	v_mul_f32_e32 v10, v10, v7
	v_add_co_u32 v7, vcc_lo, v1, s6
	s_waitcnt vmcnt(0)
	v_dual_fmac_f32 v10, v8, v9 :: v_dual_sub_f32 v9, v11, v0
	v_add_co_ci_u32_e32 v8, vcc_lo, s7, v2, vcc_lo
	s_delay_alu instid0(VALU_DEP_2)
	v_sub_f32_e32 v10, v12, v10
	global_store_b64 v[7:8], v[9:10], off
	s_cbranch_scc1 .LBB6_8
.LBB6_9:
	s_set_inst_prefetch_distance 0x2
	s_nop 0
	s_sendmsg sendmsg(MSG_DEALLOC_VGPRS)
	s_endpgm
	.section	.rodata,"a",@progbits
	.p2align	6, 0x0
	.amdhsa_kernel _ZN9rocsparseL36gtsv_interleaved_batch_thomas_kernelILj128E21rocsparse_complex_numIfEEEviiiPKT0_S5_S5_PS3_S6_S6_
		.amdhsa_group_segment_fixed_size 0
		.amdhsa_private_segment_fixed_size 0
		.amdhsa_kernarg_size 64
		.amdhsa_user_sgpr_count 15
		.amdhsa_user_sgpr_dispatch_ptr 0
		.amdhsa_user_sgpr_queue_ptr 0
		.amdhsa_user_sgpr_kernarg_segment_ptr 1
		.amdhsa_user_sgpr_dispatch_id 0
		.amdhsa_user_sgpr_private_segment_size 0
		.amdhsa_wavefront_size32 1
		.amdhsa_uses_dynamic_stack 0
		.amdhsa_enable_private_segment 0
		.amdhsa_system_sgpr_workgroup_id_x 1
		.amdhsa_system_sgpr_workgroup_id_y 0
		.amdhsa_system_sgpr_workgroup_id_z 0
		.amdhsa_system_sgpr_workgroup_info 0
		.amdhsa_system_vgpr_workitem_id 0
		.amdhsa_next_free_vgpr 28
		.amdhsa_next_free_sgpr 28
		.amdhsa_reserve_vcc 1
		.amdhsa_float_round_mode_32 0
		.amdhsa_float_round_mode_16_64 0
		.amdhsa_float_denorm_mode_32 3
		.amdhsa_float_denorm_mode_16_64 3
		.amdhsa_dx10_clamp 1
		.amdhsa_ieee_mode 1
		.amdhsa_fp16_overflow 0
		.amdhsa_workgroup_processor_mode 1
		.amdhsa_memory_ordered 1
		.amdhsa_forward_progress 0
		.amdhsa_shared_vgpr_count 0
		.amdhsa_exception_fp_ieee_invalid_op 0
		.amdhsa_exception_fp_denorm_src 0
		.amdhsa_exception_fp_ieee_div_zero 0
		.amdhsa_exception_fp_ieee_overflow 0
		.amdhsa_exception_fp_ieee_underflow 0
		.amdhsa_exception_fp_ieee_inexact 0
		.amdhsa_exception_int_div_zero 0
	.end_amdhsa_kernel
	.section	.text._ZN9rocsparseL36gtsv_interleaved_batch_thomas_kernelILj128E21rocsparse_complex_numIfEEEviiiPKT0_S5_S5_PS3_S6_S6_,"axG",@progbits,_ZN9rocsparseL36gtsv_interleaved_batch_thomas_kernelILj128E21rocsparse_complex_numIfEEEviiiPKT0_S5_S5_PS3_S6_S6_,comdat
.Lfunc_end6:
	.size	_ZN9rocsparseL36gtsv_interleaved_batch_thomas_kernelILj128E21rocsparse_complex_numIfEEEviiiPKT0_S5_S5_PS3_S6_S6_, .Lfunc_end6-_ZN9rocsparseL36gtsv_interleaved_batch_thomas_kernelILj128E21rocsparse_complex_numIfEEEviiiPKT0_S5_S5_PS3_S6_S6_
                                        ; -- End function
	.section	.AMDGPU.csdata,"",@progbits
; Kernel info:
; codeLenInByte = 1428
; NumSgprs: 30
; NumVgprs: 28
; ScratchSize: 0
; MemoryBound: 0
; FloatMode: 240
; IeeeMode: 1
; LDSByteSize: 0 bytes/workgroup (compile time only)
; SGPRBlocks: 3
; VGPRBlocks: 3
; NumSGPRsForWavesPerEU: 30
; NumVGPRsForWavesPerEU: 28
; Occupancy: 16
; WaveLimiterHint : 0
; COMPUTE_PGM_RSRC2:SCRATCH_EN: 0
; COMPUTE_PGM_RSRC2:USER_SGPR: 15
; COMPUTE_PGM_RSRC2:TRAP_HANDLER: 0
; COMPUTE_PGM_RSRC2:TGID_X_EN: 1
; COMPUTE_PGM_RSRC2:TGID_Y_EN: 0
; COMPUTE_PGM_RSRC2:TGID_Z_EN: 0
; COMPUTE_PGM_RSRC2:TIDIG_COMP_CNT: 0
	.section	.text._ZN9rocsparseL32gtsv_interleaved_batch_lu_kernelILj128E21rocsparse_complex_numIfEEEviiiPT0_S4_S4_S4_PiS4_,"axG",@progbits,_ZN9rocsparseL32gtsv_interleaved_batch_lu_kernelILj128E21rocsparse_complex_numIfEEEviiiPT0_S4_S4_S4_PiS4_,comdat
	.globl	_ZN9rocsparseL32gtsv_interleaved_batch_lu_kernelILj128E21rocsparse_complex_numIfEEEviiiPT0_S4_S4_S4_PiS4_ ; -- Begin function _ZN9rocsparseL32gtsv_interleaved_batch_lu_kernelILj128E21rocsparse_complex_numIfEEEviiiPT0_S4_S4_S4_PiS4_
	.p2align	8
	.type	_ZN9rocsparseL32gtsv_interleaved_batch_lu_kernelILj128E21rocsparse_complex_numIfEEEviiiPT0_S4_S4_S4_PiS4_,@function
_ZN9rocsparseL32gtsv_interleaved_batch_lu_kernelILj128E21rocsparse_complex_numIfEEEviiiPT0_S4_S4_S4_PiS4_: ; @_ZN9rocsparseL32gtsv_interleaved_batch_lu_kernelILj128E21rocsparse_complex_numIfEEEviiiPT0_S4_S4_S4_PiS4_
; %bb.0:
	s_load_b128 s[16:19], s[0:1], 0x0
	s_lshl_b32 s14, s15, 7
	s_mov_b32 s2, exec_lo
	v_or_b32_e32 v1, s14, v0
	s_waitcnt lgkmcnt(0)
	s_delay_alu instid0(VALU_DEP_1)
	v_cmpx_gt_i32_e64 s17, v1
	s_cbranch_execz .LBB7_31
; %bb.1:
	s_clause 0x1
	s_load_b256 s[4:11], s[0:1], 0x18
	s_load_b64 s[2:3], s[0:1], 0x38
	v_ashrrev_i32_e32 v2, 31, v1
	v_mov_b32_e32 v4, 0
	s_add_i32 s15, s16, -1
	s_cmp_lt_i32 s16, 2
	s_delay_alu instid0(VALU_DEP_2) | instskip(SKIP_1) | instid1(VALU_DEP_1)
	v_lshlrev_b64 v[2:3], 2, v[1:2]
	s_waitcnt lgkmcnt(0)
	v_add_co_u32 v2, vcc_lo, s10, v2
	s_delay_alu instid0(VALU_DEP_2)
	v_add_co_ci_u32_e32 v3, vcc_lo, s11, v3, vcc_lo
	global_store_b32 v[2:3], v4, off
	s_cbranch_scc1 .LBB7_28
; %bb.2:
	s_load_b64 s[12:13], s[0:1], 0x10
	s_mov_b32 s1, 0
	s_branch .LBB7_4
.LBB7_3:                                ;   in Loop: Header=BB7_4 Depth=1
	s_or_b32 exec_lo, exec_lo, s19
	v_add_co_u32 v4, vcc_lo, s6, v4
	s_waitcnt vmcnt(0)
	v_dual_sub_f32 v6, v18, v21 :: v_dual_sub_f32 v7, v19, v22
	v_add_co_ci_u32_e32 v5, vcc_lo, s7, v5, vcc_lo
	s_cmp_eq_u32 s0, s15
	s_mov_b32 s1, s0
	global_store_b32 v[16:17], v6, off
	global_store_b32 v[4:5], v7, off offset:4
	s_cbranch_scc1 .LBB7_20
.LBB7_4:                                ; =>This Inner Loop Header: Depth=1
	v_mad_u64_u32 v[4:5], null, s1, s18, v[1:2]
                                        ; implicit-def: $vgpr16
	s_mov_b32 s0, exec_lo
	s_delay_alu instid0(VALU_DEP_1) | instskip(SKIP_1) | instid1(VALU_DEP_2)
	v_ashrrev_i32_e32 v5, 31, v4
	v_add_nc_u32_e32 v6, s18, v4
	v_lshlrev_b64 v[12:13], 3, v[4:5]
	s_delay_alu instid0(VALU_DEP_2) | instskip(NEXT) | instid1(VALU_DEP_1)
	v_ashrrev_i32_e32 v7, 31, v6
	v_lshlrev_b64 v[4:5], 3, v[6:7]
	s_delay_alu instid0(VALU_DEP_3) | instskip(NEXT) | instid1(VALU_DEP_4)
	v_add_co_u32 v14, vcc_lo, s4, v12
	v_add_co_ci_u32_e32 v15, vcc_lo, s5, v13, vcc_lo
	s_waitcnt lgkmcnt(0)
	s_delay_alu instid0(VALU_DEP_3)
	v_add_co_u32 v6, vcc_lo, s12, v4
	global_load_b64 v[10:11], v[14:15], off
	v_add_co_ci_u32_e32 v7, vcc_lo, s13, v5, vcc_lo
	global_load_b64 v[8:9], v[6:7], off
	s_waitcnt vmcnt(1)
	v_cmp_gt_f32_e32 vcc_lo, 0, v10
	v_cndmask_b32_e64 v17, v10, -v10, vcc_lo
	v_cmp_gt_f32_e32 vcc_lo, 0, v11
	v_cndmask_b32_e64 v18, v11, -v11, vcc_lo
	s_delay_alu instid0(VALU_DEP_1)
	v_cmpx_ngt_f32_e32 v17, v18
	s_xor_b32 s19, exec_lo, s0
	s_cbranch_execz .LBB7_8
; %bb.5:                                ;   in Loop: Header=BB7_4 Depth=1
	v_mov_b32_e32 v16, 0
	s_mov_b32 s20, exec_lo
	v_cmpx_neq_f32_e32 0, v11
	s_cbranch_execz .LBB7_7
; %bb.6:                                ;   in Loop: Header=BB7_4 Depth=1
	v_div_scale_f32 v16, null, v18, v18, v17
	v_div_scale_f32 v21, vcc_lo, v17, v18, v17
	s_delay_alu instid0(VALU_DEP_2) | instskip(SKIP_2) | instid1(VALU_DEP_1)
	v_rcp_f32_e32 v19, v16
	s_waitcnt_depctr 0xfff
	v_fma_f32 v20, -v16, v19, 1.0
	v_fmac_f32_e32 v19, v20, v19
	s_delay_alu instid0(VALU_DEP_1) | instskip(NEXT) | instid1(VALU_DEP_1)
	v_mul_f32_e32 v20, v21, v19
	v_fma_f32 v22, -v16, v20, v21
	s_delay_alu instid0(VALU_DEP_1) | instskip(NEXT) | instid1(VALU_DEP_1)
	v_fmac_f32_e32 v20, v22, v19
	v_fma_f32 v16, -v16, v20, v21
	s_delay_alu instid0(VALU_DEP_1) | instskip(NEXT) | instid1(VALU_DEP_1)
	v_div_fmas_f32 v16, v16, v19, v20
	v_div_fixup_f32 v16, v16, v18, v17
	s_delay_alu instid0(VALU_DEP_1) | instskip(NEXT) | instid1(VALU_DEP_1)
	v_fma_f32 v16, v16, v16, 1.0
	v_mul_f32_e32 v17, 0x4f800000, v16
	v_cmp_gt_f32_e32 vcc_lo, 0xf800000, v16
	s_delay_alu instid0(VALU_DEP_2) | instskip(NEXT) | instid1(VALU_DEP_1)
	v_cndmask_b32_e32 v16, v16, v17, vcc_lo
	v_sqrt_f32_e32 v17, v16
	s_waitcnt_depctr 0xfff
	v_add_nc_u32_e32 v19, -1, v17
	v_add_nc_u32_e32 v20, 1, v17
	s_delay_alu instid0(VALU_DEP_2) | instskip(NEXT) | instid1(VALU_DEP_2)
	v_fma_f32 v21, -v19, v17, v16
	v_fma_f32 v22, -v20, v17, v16
	s_delay_alu instid0(VALU_DEP_2) | instskip(NEXT) | instid1(VALU_DEP_1)
	v_cmp_ge_f32_e64 s0, 0, v21
	v_cndmask_b32_e64 v17, v17, v19, s0
	s_delay_alu instid0(VALU_DEP_3) | instskip(NEXT) | instid1(VALU_DEP_1)
	v_cmp_lt_f32_e64 s0, 0, v22
	v_cndmask_b32_e64 v17, v17, v20, s0
	s_delay_alu instid0(VALU_DEP_1) | instskip(NEXT) | instid1(VALU_DEP_1)
	v_mul_f32_e32 v19, 0x37800000, v17
	v_cndmask_b32_e32 v17, v17, v19, vcc_lo
	v_cmp_class_f32_e64 vcc_lo, v16, 0x260
	s_delay_alu instid0(VALU_DEP_2) | instskip(NEXT) | instid1(VALU_DEP_1)
	v_cndmask_b32_e32 v16, v17, v16, vcc_lo
	v_mul_f32_e32 v16, v18, v16
.LBB7_7:                                ;   in Loop: Header=BB7_4 Depth=1
	s_or_b32 exec_lo, exec_lo, s20
                                        ; implicit-def: $vgpr17
                                        ; implicit-def: $vgpr18
.LBB7_8:                                ;   in Loop: Header=BB7_4 Depth=1
	s_and_not1_saveexec_b32 s19, s19
	s_cbranch_execz .LBB7_10
; %bb.9:                                ;   in Loop: Header=BB7_4 Depth=1
	v_div_scale_f32 v16, null, v17, v17, v18
	v_div_scale_f32 v21, vcc_lo, v18, v17, v18
	s_delay_alu instid0(VALU_DEP_2) | instskip(SKIP_2) | instid1(VALU_DEP_1)
	v_rcp_f32_e32 v19, v16
	s_waitcnt_depctr 0xfff
	v_fma_f32 v20, -v16, v19, 1.0
	v_fmac_f32_e32 v19, v20, v19
	s_delay_alu instid0(VALU_DEP_1) | instskip(NEXT) | instid1(VALU_DEP_1)
	v_mul_f32_e32 v20, v21, v19
	v_fma_f32 v22, -v16, v20, v21
	s_delay_alu instid0(VALU_DEP_1) | instskip(NEXT) | instid1(VALU_DEP_1)
	v_fmac_f32_e32 v20, v22, v19
	v_fma_f32 v16, -v16, v20, v21
	s_delay_alu instid0(VALU_DEP_1) | instskip(NEXT) | instid1(VALU_DEP_1)
	v_div_fmas_f32 v16, v16, v19, v20
	v_div_fixup_f32 v16, v16, v17, v18
	s_delay_alu instid0(VALU_DEP_1) | instskip(NEXT) | instid1(VALU_DEP_1)
	v_fma_f32 v16, v16, v16, 1.0
	v_mul_f32_e32 v18, 0x4f800000, v16
	v_cmp_gt_f32_e32 vcc_lo, 0xf800000, v16
	s_delay_alu instid0(VALU_DEP_2) | instskip(NEXT) | instid1(VALU_DEP_1)
	v_cndmask_b32_e32 v16, v16, v18, vcc_lo
	v_sqrt_f32_e32 v18, v16
	s_waitcnt_depctr 0xfff
	v_add_nc_u32_e32 v19, -1, v18
	v_add_nc_u32_e32 v20, 1, v18
	s_delay_alu instid0(VALU_DEP_2) | instskip(NEXT) | instid1(VALU_DEP_2)
	v_fma_f32 v21, -v19, v18, v16
	v_fma_f32 v22, -v20, v18, v16
	s_delay_alu instid0(VALU_DEP_2) | instskip(NEXT) | instid1(VALU_DEP_1)
	v_cmp_ge_f32_e64 s0, 0, v21
	v_cndmask_b32_e64 v18, v18, v19, s0
	s_delay_alu instid0(VALU_DEP_3) | instskip(NEXT) | instid1(VALU_DEP_1)
	v_cmp_lt_f32_e64 s0, 0, v22
	v_cndmask_b32_e64 v18, v18, v20, s0
	s_delay_alu instid0(VALU_DEP_1) | instskip(NEXT) | instid1(VALU_DEP_1)
	v_mul_f32_e32 v19, 0x37800000, v18
	v_cndmask_b32_e32 v18, v18, v19, vcc_lo
	v_cmp_class_f32_e64 vcc_lo, v16, 0x260
	s_delay_alu instid0(VALU_DEP_2) | instskip(NEXT) | instid1(VALU_DEP_1)
	v_cndmask_b32_e32 v16, v18, v16, vcc_lo
	v_mul_f32_e32 v16, v17, v16
.LBB7_10:                               ;   in Loop: Header=BB7_4 Depth=1
	s_or_b32 exec_lo, exec_lo, s19
	s_waitcnt vmcnt(0)
	v_cmp_gt_f32_e32 vcc_lo, 0, v8
                                        ; implicit-def: $vgpr19
	s_mov_b32 s0, exec_lo
	v_cndmask_b32_e64 v17, v8, -v8, vcc_lo
	v_cmp_gt_f32_e32 vcc_lo, 0, v9
	v_cndmask_b32_e64 v18, v9, -v9, vcc_lo
	s_delay_alu instid0(VALU_DEP_1)
	v_cmpx_ngt_f32_e32 v17, v18
	s_xor_b32 s19, exec_lo, s0
	s_cbranch_execz .LBB7_14
; %bb.11:                               ;   in Loop: Header=BB7_4 Depth=1
	v_mov_b32_e32 v19, 0
	s_mov_b32 s20, exec_lo
	v_cmpx_neq_f32_e32 0, v9
	s_cbranch_execz .LBB7_13
; %bb.12:                               ;   in Loop: Header=BB7_4 Depth=1
	v_div_scale_f32 v19, null, v18, v18, v17
	v_div_scale_f32 v22, vcc_lo, v17, v18, v17
	s_delay_alu instid0(VALU_DEP_2) | instskip(SKIP_2) | instid1(VALU_DEP_1)
	v_rcp_f32_e32 v20, v19
	s_waitcnt_depctr 0xfff
	v_fma_f32 v21, -v19, v20, 1.0
	v_fmac_f32_e32 v20, v21, v20
	s_delay_alu instid0(VALU_DEP_1) | instskip(NEXT) | instid1(VALU_DEP_1)
	v_mul_f32_e32 v21, v22, v20
	v_fma_f32 v23, -v19, v21, v22
	s_delay_alu instid0(VALU_DEP_1) | instskip(NEXT) | instid1(VALU_DEP_1)
	v_fmac_f32_e32 v21, v23, v20
	v_fma_f32 v19, -v19, v21, v22
	s_delay_alu instid0(VALU_DEP_1) | instskip(NEXT) | instid1(VALU_DEP_1)
	v_div_fmas_f32 v19, v19, v20, v21
	v_div_fixup_f32 v17, v19, v18, v17
	s_delay_alu instid0(VALU_DEP_1) | instskip(NEXT) | instid1(VALU_DEP_1)
	v_fma_f32 v17, v17, v17, 1.0
	v_mul_f32_e32 v19, 0x4f800000, v17
	v_cmp_gt_f32_e32 vcc_lo, 0xf800000, v17
	s_delay_alu instid0(VALU_DEP_2) | instskip(NEXT) | instid1(VALU_DEP_1)
	v_cndmask_b32_e32 v17, v17, v19, vcc_lo
	v_sqrt_f32_e32 v19, v17
	s_waitcnt_depctr 0xfff
	v_add_nc_u32_e32 v20, -1, v19
	v_add_nc_u32_e32 v21, 1, v19
	s_delay_alu instid0(VALU_DEP_2) | instskip(NEXT) | instid1(VALU_DEP_2)
	v_fma_f32 v22, -v20, v19, v17
	v_fma_f32 v23, -v21, v19, v17
	s_delay_alu instid0(VALU_DEP_2) | instskip(NEXT) | instid1(VALU_DEP_1)
	v_cmp_ge_f32_e64 s0, 0, v22
	v_cndmask_b32_e64 v19, v19, v20, s0
	s_delay_alu instid0(VALU_DEP_3) | instskip(NEXT) | instid1(VALU_DEP_1)
	v_cmp_lt_f32_e64 s0, 0, v23
	v_cndmask_b32_e64 v19, v19, v21, s0
	s_delay_alu instid0(VALU_DEP_1) | instskip(NEXT) | instid1(VALU_DEP_1)
	v_mul_f32_e32 v20, 0x37800000, v19
	v_cndmask_b32_e32 v19, v19, v20, vcc_lo
	v_cmp_class_f32_e64 vcc_lo, v17, 0x260
	s_delay_alu instid0(VALU_DEP_2) | instskip(NEXT) | instid1(VALU_DEP_1)
	v_cndmask_b32_e32 v17, v19, v17, vcc_lo
	v_mul_f32_e32 v19, v18, v17
.LBB7_13:                               ;   in Loop: Header=BB7_4 Depth=1
	s_or_b32 exec_lo, exec_lo, s20
                                        ; implicit-def: $vgpr17
                                        ; implicit-def: $vgpr18
.LBB7_14:                               ;   in Loop: Header=BB7_4 Depth=1
	s_and_not1_saveexec_b32 s19, s19
	s_cbranch_execz .LBB7_16
; %bb.15:                               ;   in Loop: Header=BB7_4 Depth=1
	v_div_scale_f32 v19, null, v17, v17, v18
	v_div_scale_f32 v22, vcc_lo, v18, v17, v18
	s_delay_alu instid0(VALU_DEP_2) | instskip(SKIP_2) | instid1(VALU_DEP_1)
	v_rcp_f32_e32 v20, v19
	s_waitcnt_depctr 0xfff
	v_fma_f32 v21, -v19, v20, 1.0
	v_fmac_f32_e32 v20, v21, v20
	s_delay_alu instid0(VALU_DEP_1) | instskip(NEXT) | instid1(VALU_DEP_1)
	v_mul_f32_e32 v21, v22, v20
	v_fma_f32 v23, -v19, v21, v22
	s_delay_alu instid0(VALU_DEP_1) | instskip(NEXT) | instid1(VALU_DEP_1)
	v_fmac_f32_e32 v21, v23, v20
	v_fma_f32 v19, -v19, v21, v22
	s_delay_alu instid0(VALU_DEP_1) | instskip(NEXT) | instid1(VALU_DEP_1)
	v_div_fmas_f32 v19, v19, v20, v21
	v_div_fixup_f32 v18, v19, v17, v18
	s_delay_alu instid0(VALU_DEP_1) | instskip(NEXT) | instid1(VALU_DEP_1)
	v_fma_f32 v18, v18, v18, 1.0
	v_mul_f32_e32 v19, 0x4f800000, v18
	v_cmp_gt_f32_e32 vcc_lo, 0xf800000, v18
	s_delay_alu instid0(VALU_DEP_2) | instskip(NEXT) | instid1(VALU_DEP_1)
	v_cndmask_b32_e32 v18, v18, v19, vcc_lo
	v_sqrt_f32_e32 v19, v18
	s_waitcnt_depctr 0xfff
	v_add_nc_u32_e32 v20, -1, v19
	v_add_nc_u32_e32 v21, 1, v19
	s_delay_alu instid0(VALU_DEP_2) | instskip(NEXT) | instid1(VALU_DEP_2)
	v_fma_f32 v22, -v20, v19, v18
	v_fma_f32 v23, -v21, v19, v18
	s_delay_alu instid0(VALU_DEP_2) | instskip(NEXT) | instid1(VALU_DEP_1)
	v_cmp_ge_f32_e64 s0, 0, v22
	v_cndmask_b32_e64 v19, v19, v20, s0
	s_delay_alu instid0(VALU_DEP_3) | instskip(NEXT) | instid1(VALU_DEP_1)
	v_cmp_lt_f32_e64 s0, 0, v23
	v_cndmask_b32_e64 v19, v19, v21, s0
	s_delay_alu instid0(VALU_DEP_1) | instskip(NEXT) | instid1(VALU_DEP_1)
	v_mul_f32_e32 v20, 0x37800000, v19
	v_cndmask_b32_e32 v19, v19, v20, vcc_lo
	v_cmp_class_f32_e64 vcc_lo, v18, 0x260
	s_delay_alu instid0(VALU_DEP_2) | instskip(NEXT) | instid1(VALU_DEP_1)
	v_cndmask_b32_e32 v18, v19, v18, vcc_lo
	v_mul_f32_e32 v19, v17, v18
.LBB7_16:                               ;   in Loop: Header=BB7_4 Depth=1
	s_or_b32 exec_lo, exec_lo, s19
	s_delay_alu instid0(VALU_DEP_1) | instskip(SKIP_3) | instid1(SALU_CYCLE_1)
	v_cmp_nlt_f32_e32 vcc_lo, v16, v19
	v_mul_f32_e32 v20, v11, v9
	s_add_i32 s0, s1, 1
                                        ; implicit-def: $vgpr16_vgpr17
                                        ; implicit-def: $vgpr22
                                        ; implicit-def: $vgpr21
                                        ; implicit-def: $vgpr18_vgpr19
	s_and_saveexec_b32 s19, vcc_lo
	s_xor_b32 s19, exec_lo, s19
	s_cbranch_execz .LBB7_18
; %bb.17:                               ;   in Loop: Header=BB7_4 Depth=1
	v_mad_u64_u32 v[14:15], null, s1, s17, v[1:2]
	v_add_co_u32 v12, vcc_lo, s6, v12
	v_add_co_ci_u32_e32 v13, vcc_lo, s7, v13, vcc_lo
	v_dual_mul_f32 v21, v11, v11 :: v_dual_fmac_f32 v20, v8, v10
	s_delay_alu instid0(VALU_DEP_4)
	v_ashrrev_i32_e32 v15, 31, v14
	global_load_b64 v[12:13], v[12:13], off
	v_mul_f32_e64 v11, v11, -v8
	v_fmac_f32_e32 v21, v10, v10
	s_mul_i32 s20, s0, s17
	v_lshlrev_b64 v[14:15], 3, v[14:15]
	s_ashr_i32 s21, s20, 31
	v_fmac_f32_e32 v11, v9, v10
	v_div_scale_f32 v22, null, v21, v21, 1.0
	s_lshl_b64 s[20:21], s[20:21], 2
	s_delay_alu instid0(VALU_DEP_3)
	v_add_co_u32 v14, vcc_lo, s8, v14
	v_add_co_ci_u32_e32 v15, vcc_lo, s9, v15, vcc_lo
	v_add_co_u32 v23, vcc_lo, s4, v4
	v_add_co_ci_u32_e32 v24, vcc_lo, s5, v5, vcc_lo
	global_load_b64 v[14:15], v[14:15], off
	global_load_b64 v[25:26], v[23:24], off
	v_add_co_u32 v16, vcc_lo, s6, v4
	v_add_co_ci_u32_e32 v17, vcc_lo, s7, v5, vcc_lo
	v_rcp_f32_e32 v27, v22
	v_div_scale_f32 v29, vcc_lo, 1.0, v21, 1.0
	global_load_b64 v[18:19], v[16:17], off
	v_fma_f32 v28, -v22, v27, 1.0
	s_delay_alu instid0(VALU_DEP_1) | instskip(NEXT) | instid1(VALU_DEP_1)
	v_fmac_f32_e32 v27, v28, v27
	v_mul_f32_e32 v28, v29, v27
	s_delay_alu instid0(VALU_DEP_1) | instskip(NEXT) | instid1(VALU_DEP_1)
	v_fma_f32 v30, -v22, v28, v29
	v_fmac_f32_e32 v28, v30, v27
	s_delay_alu instid0(VALU_DEP_1) | instskip(NEXT) | instid1(VALU_DEP_1)
	v_fma_f32 v22, -v22, v28, v29
	v_div_fmas_f32 v22, v22, v27, v28
	v_mov_b32_e32 v27, s0
	v_add_co_u32 v10, vcc_lo, v2, s20
	s_delay_alu instid0(VALU_DEP_3) | instskip(NEXT) | instid1(VALU_DEP_1)
	v_div_fixup_f32 v21, v22, v21, 1.0
	v_mul_f32_e32 v8, v20, v21
	v_mul_f32_e32 v9, v11, v21
	v_add_co_ci_u32_e32 v11, vcc_lo, s21, v3, vcc_lo
	s_waitcnt vmcnt(3)
	s_delay_alu instid0(VALU_DEP_2) | instskip(NEXT) | instid1(VALU_DEP_1)
	v_mul_f32_e64 v20, v13, -v9
	v_fmac_f32_e32 v20, v8, v12
	s_waitcnt vmcnt(2)
	v_mul_f32_e32 v22, v8, v15
	v_mul_f32_e32 v13, v8, v13
	v_mul_f32_e64 v21, v15, -v9
	s_delay_alu instid0(VALU_DEP_3) | instskip(NEXT) | instid1(VALU_DEP_3)
	v_fmac_f32_e32 v22, v9, v14
	v_fmac_f32_e32 v13, v9, v12
	s_waitcnt vmcnt(1)
	s_delay_alu instid0(VALU_DEP_3) | instskip(NEXT) | instid1(VALU_DEP_2)
	v_dual_sub_f32 v12, v25, v20 :: v_dual_fmac_f32 v21, v8, v14
                                        ; implicit-def: $vgpr14_vgpr15
                                        ; implicit-def: $vgpr20
	v_sub_f32_e32 v13, v26, v13
	global_store_b32 v[10:11], v27, off
	global_store_b64 v[6:7], v[8:9], off
	global_store_b64 v[23:24], v[12:13], off
                                        ; implicit-def: $vgpr12_vgpr13
                                        ; implicit-def: $vgpr8_vgpr9
                                        ; implicit-def: $vgpr10_vgpr11
                                        ; implicit-def: $vgpr6_vgpr7
.LBB7_18:                               ;   in Loop: Header=BB7_4 Depth=1
	s_and_not1_saveexec_b32 s19, s19
	s_cbranch_execz .LBB7_3
; %bb.19:                               ;   in Loop: Header=BB7_4 Depth=1
	s_mul_i32 s20, s1, s17
	v_add_co_u32 v23, vcc_lo, s4, v4
	v_add_nc_u32_e32 v21, s20, v1
	v_add_co_ci_u32_e32 v24, vcc_lo, s5, v5, vcc_lo
	s_ashr_i32 s21, s20, 31
	v_fmac_f32_e32 v20, v10, v8
	s_delay_alu instid0(VALU_DEP_3) | instskip(SKIP_1) | instid1(VALU_DEP_1)
	v_ashrrev_i32_e32 v22, 31, v21
	s_lshl_b64 s[20:21], s[20:21], 2
	v_lshlrev_b64 v[16:17], 3, v[21:22]
	v_mul_f32_e32 v22, v9, v9
	s_delay_alu instid0(VALU_DEP_1) | instskip(NEXT) | instid1(VALU_DEP_3)
	v_fmac_f32_e32 v22, v8, v8
	v_add_co_u32 v25, vcc_lo, s8, v16
	s_delay_alu instid0(VALU_DEP_4)
	v_add_co_ci_u32_e32 v26, vcc_lo, s9, v17, vcc_lo
	global_load_b64 v[27:28], v[23:24], off
	global_load_b64 v[18:19], v[25:26], off
	v_add_co_u32 v29, vcc_lo, s6, v12
	v_add_co_ci_u32_e32 v30, vcc_lo, s7, v13, vcc_lo
	v_add_co_u32 v16, vcc_lo, s6, v4
	v_add_co_ci_u32_e32 v17, vcc_lo, s7, v5, vcc_lo
	s_clause 0x1
	global_load_b64 v[31:32], v[29:30], off
	global_load_b64 v[33:34], v[16:17], off
	v_div_scale_f32 v42, null, v22, v22, 1.0
	s_waitcnt vmcnt(3)
	global_store_b64 v[29:30], v[27:28], off
	s_waitcnt vmcnt(2)
	global_store_b64 v[16:17], v[18:19], off
	global_load_b64 v[27:28], v[29:30], off
	v_add_co_u32 v29, vcc_lo, v2, s20
	v_add_co_ci_u32_e32 v30, vcc_lo, s21, v3, vcc_lo
	v_add_co_u32 v35, vcc_lo, s2, v4
	v_add_co_ci_u32_e32 v36, vcc_lo, s3, v5, vcc_lo
	global_load_b32 v41, v[29:30], off
	v_add_co_u32 v12, vcc_lo, s2, v12
	v_add_co_ci_u32_e32 v13, vcc_lo, s3, v13, vcc_lo
	s_clause 0x1
	global_load_b64 v[37:38], v[35:36], off
	global_load_b64 v[39:40], v[12:13], off
	v_rcp_f32_e32 v43, v42
	v_div_scale_f32 v45, vcc_lo, 1.0, v22, 1.0
	v_add_nc_u32_e32 v21, s17, v21
	s_waitcnt_depctr 0xfff
	v_fma_f32 v44, -v42, v43, 1.0
	s_delay_alu instid0(VALU_DEP_1) | instskip(NEXT) | instid1(VALU_DEP_1)
	v_fmac_f32_e32 v43, v44, v43
	v_mul_f32_e32 v44, v45, v43
	s_delay_alu instid0(VALU_DEP_1) | instskip(NEXT) | instid1(VALU_DEP_1)
	v_fma_f32 v46, -v42, v44, v45
	v_fmac_f32_e32 v44, v46, v43
	s_delay_alu instid0(VALU_DEP_1) | instskip(SKIP_1) | instid1(VALU_DEP_1)
	v_fma_f32 v42, -v42, v44, v45
	v_mul_f32_e64 v45, v9, -v10
	v_fmac_f32_e32 v45, v11, v8
	s_delay_alu instid0(VALU_DEP_3)
	v_div_fmas_f32 v42, v42, v43, v44
	v_mov_b32_e32 v43, s0
	global_store_b64 v[14:15], v[8:9], off
	global_store_b32 v[29:30], v43, off
	v_div_fixup_f32 v42, v42, v22, 1.0
	v_ashrrev_i32_e32 v22, 31, v21
	s_waitcnt vmcnt(4)
	global_store_b64 v[25:26], v[33:34], off
	v_dual_mul_f32 v11, v45, v42 :: v_dual_mul_f32 v10, v42, v20
	v_lshlrev_b64 v[20:21], 2, v[21:22]
	s_delay_alu instid0(VALU_DEP_2) | instskip(NEXT) | instid1(VALU_DEP_2)
	v_mul_f32_e32 v22, v10, v34
	v_add_co_u32 v8, vcc_lo, s10, v20
	s_delay_alu instid0(VALU_DEP_3) | instskip(SKIP_1) | instid1(VALU_DEP_4)
	v_add_co_ci_u32_e32 v9, vcc_lo, s11, v21, vcc_lo
	v_mul_f32_e64 v21, v34, -v11
	v_fmac_f32_e32 v22, v11, v33
	s_delay_alu instid0(VALU_DEP_2) | instskip(SKIP_2) | instid1(VALU_DEP_1)
	v_fmac_f32_e32 v21, v10, v33
	s_waitcnt vmcnt(3)
	v_mul_f32_e64 v14, v28, -v11
	v_fmac_f32_e32 v14, v10, v27
	v_mul_f32_e32 v15, v10, v28
	s_waitcnt vmcnt(2)
	global_store_b32 v[8:9], v41, off
	v_sub_f32_e32 v8, v31, v14
	v_fmac_f32_e32 v15, v11, v27
	s_delay_alu instid0(VALU_DEP_1)
	v_sub_f32_e32 v9, v32, v15
	s_waitcnt vmcnt(1)
	global_store_b64 v[12:13], v[37:38], off
	s_waitcnt vmcnt(0)
	global_store_b64 v[35:36], v[39:40], off
	global_store_b64 v[6:7], v[10:11], off
	;; [unrolled: 1-line block ×3, first 2 shown]
	s_branch .LBB7_3
.LBB7_20:
	v_mov_b32_e32 v4, 0
	s_mov_b32 s0, 1
	s_branch .LBB7_23
.LBB7_21:                               ;   in Loop: Header=BB7_23 Depth=1
	s_or_b32 exec_lo, exec_lo, s10
	v_mad_u64_u32 v[7:8], null, s0, s18, v[1:2]
	v_mov_b32_e32 v4, s0
	s_delay_alu instid0(VALU_DEP_2) | instskip(NEXT) | instid1(VALU_DEP_1)
	v_ashrrev_i32_e32 v8, 31, v7
	v_lshlrev_b64 v[7:8], 3, v[7:8]
	s_delay_alu instid0(VALU_DEP_1) | instskip(NEXT) | instid1(VALU_DEP_2)
	v_add_co_u32 v7, vcc_lo, s2, v7
	v_add_co_ci_u32_e32 v8, vcc_lo, s3, v8, vcc_lo
	global_load_b64 v[9:10], v[7:8], off
	s_waitcnt vmcnt(0)
	v_dual_add_f32 v9, v6, v9 :: v_dual_add_f32 v10, v5, v10
	global_store_b64 v[7:8], v[9:10], off
.LBB7_22:                               ;   in Loop: Header=BB7_23 Depth=1
	s_or_b32 exec_lo, exec_lo, s1
	s_add_i32 s0, s0, 1
	s_delay_alu instid0(SALU_CYCLE_1)
	s_cmp_eq_u32 s0, s16
	s_cbranch_scc1 .LBB7_28
.LBB7_23:                               ; =>This Loop Header: Depth=1
                                        ;     Child Loop BB7_26 Depth 2
	s_mul_i32 s10, s0, s17
	s_mov_b32 s1, exec_lo
	s_ashr_i32 s11, s10, 31
	s_delay_alu instid0(SALU_CYCLE_1) | instskip(NEXT) | instid1(SALU_CYCLE_1)
	s_lshl_b64 s[10:11], s[10:11], 2
	v_add_co_u32 v5, vcc_lo, v2, s10
	v_add_co_ci_u32_e32 v6, vcc_lo, s11, v3, vcc_lo
	global_load_b32 v5, v[5:6], off
	s_waitcnt vmcnt(0)
	v_cmpx_ge_i32_e64 s0, v5
	s_cbranch_execz .LBB7_22
; %bb.24:                               ;   in Loop: Header=BB7_23 Depth=1
	v_dual_mov_b32 v5, 0 :: v_dual_mov_b32 v6, 0
	s_mov_b32 s10, exec_lo
	v_cmpx_gt_i32_e64 s0, v4
	s_cbranch_execz .LBB7_21
; %bb.25:                               ;   in Loop: Header=BB7_23 Depth=1
	v_mul_lo_u32 v7, s18, v4
	v_dual_mov_b32 v5, 0 :: v_dual_mov_b32 v8, v1
	s_mov_b32 s11, 0
	s_delay_alu instid0(VALU_DEP_2)
	v_dual_mov_b32 v6, 0 :: v_dual_add_nc_u32 v9, s18, v7
	.p2align	6
.LBB7_26:                               ;   Parent Loop BB7_23 Depth=1
                                        ; =>  This Inner Loop Header: Depth=2
	s_delay_alu instid0(VALU_DEP_1) | instskip(SKIP_2) | instid1(VALU_DEP_3)
	v_add_nc_u32_e32 v10, v9, v8
	v_add_nc_u32_e32 v12, v7, v8
	;; [unrolled: 1-line block ×3, first 2 shown]
	v_ashrrev_i32_e32 v11, 31, v10
	s_delay_alu instid0(VALU_DEP_3) | instskip(NEXT) | instid1(VALU_DEP_2)
	v_ashrrev_i32_e32 v13, 31, v12
	v_lshlrev_b64 v[10:11], 3, v[10:11]
	s_delay_alu instid0(VALU_DEP_2) | instskip(NEXT) | instid1(VALU_DEP_2)
	v_lshlrev_b64 v[12:13], 3, v[12:13]
	v_add_co_u32 v10, vcc_lo, s12, v10
	s_delay_alu instid0(VALU_DEP_3) | instskip(NEXT) | instid1(VALU_DEP_3)
	v_add_co_ci_u32_e32 v11, vcc_lo, s13, v11, vcc_lo
	v_add_co_u32 v12, vcc_lo, s2, v12
	s_delay_alu instid0(VALU_DEP_4) | instskip(SKIP_4) | instid1(VALU_DEP_1)
	v_add_co_ci_u32_e32 v13, vcc_lo, s3, v13, vcc_lo
	global_load_b64 v[10:11], v[10:11], off
	global_load_b64 v[12:13], v[12:13], off
	s_waitcnt vmcnt(0)
	v_mul_f32_e64 v14, v13, -v11
	v_dual_mul_f32 v13, v13, v10 :: v_dual_fmac_f32 v14, v10, v12
	s_delay_alu instid0(VALU_DEP_1) | instskip(NEXT) | instid1(VALU_DEP_1)
	v_dual_fmac_f32 v13, v11, v12 :: v_dual_sub_f32 v6, v6, v14
	v_dual_sub_f32 v5, v5, v13 :: v_dual_add_nc_u32 v4, 1, v4
	s_delay_alu instid0(VALU_DEP_1) | instskip(SKIP_1) | instid1(SALU_CYCLE_1)
	v_cmp_le_i32_e32 vcc_lo, s0, v4
	s_or_b32 s11, vcc_lo, s11
	s_and_not1_b32 exec_lo, exec_lo, s11
	s_cbranch_execnz .LBB7_26
; %bb.27:                               ;   in Loop: Header=BB7_23 Depth=1
	s_or_b32 exec_lo, exec_lo, s11
	s_branch .LBB7_21
.LBB7_28:
	s_mul_i32 s15, s15, s18
	s_delay_alu instid0(SALU_CYCLE_1) | instskip(SKIP_3) | instid1(VALU_DEP_2)
	v_add_nc_u32_e32 v2, s15, v1
	s_sub_i32 s0, s15, s18
	s_cmp_lt_i32 s16, 3
	v_add_nc_u32_e32 v8, s0, v1
	v_ashrrev_i32_e32 v3, 31, v2
	s_delay_alu instid0(VALU_DEP_2) | instskip(NEXT) | instid1(VALU_DEP_2)
	v_ashrrev_i32_e32 v9, 31, v8
	v_lshlrev_b64 v[2:3], 3, v[2:3]
	s_delay_alu instid0(VALU_DEP_2) | instskip(NEXT) | instid1(VALU_DEP_2)
	v_lshlrev_b64 v[8:9], 3, v[8:9]
	v_add_co_u32 v4, vcc_lo, s4, v2
	s_delay_alu instid0(VALU_DEP_3)
	v_add_co_ci_u32_e32 v5, vcc_lo, s5, v3, vcc_lo
	v_add_co_u32 v2, vcc_lo, s2, v2
	v_add_co_ci_u32_e32 v3, vcc_lo, s3, v3, vcc_lo
	global_load_b64 v[4:5], v[4:5], off
	v_add_co_u32 v10, vcc_lo, s4, v8
	global_load_b64 v[6:7], v[2:3], off
	v_add_co_ci_u32_e32 v11, vcc_lo, s5, v9, vcc_lo
	global_load_b64 v[10:11], v[10:11], off
	s_waitcnt vmcnt(2)
	v_mul_f32_e32 v14, v5, v5
	s_delay_alu instid0(VALU_DEP_1) | instskip(NEXT) | instid1(VALU_DEP_1)
	v_fmac_f32_e32 v14, v4, v4
	v_div_scale_f32 v12, null, v14, v14, 1.0
	s_delay_alu instid0(VALU_DEP_1) | instskip(SKIP_2) | instid1(VALU_DEP_1)
	v_rcp_f32_e32 v13, v12
	s_waitcnt_depctr 0xfff
	v_fma_f32 v15, -v12, v13, 1.0
	v_fmac_f32_e32 v13, v15, v13
	v_div_scale_f32 v16, vcc_lo, 1.0, v14, 1.0
	s_delay_alu instid0(VALU_DEP_1) | instskip(NEXT) | instid1(VALU_DEP_1)
	v_mul_f32_e32 v15, v16, v13
	v_fma_f32 v17, -v12, v15, v16
	s_delay_alu instid0(VALU_DEP_1) | instskip(SKIP_2) | instid1(VALU_DEP_2)
	v_fmac_f32_e32 v15, v17, v13
	s_waitcnt vmcnt(1)
	v_mul_f32_e64 v17, v5, -v6
	v_fma_f32 v12, -v12, v15, v16
	s_delay_alu instid0(VALU_DEP_2) | instskip(NEXT) | instid1(VALU_DEP_1)
	v_dual_mul_f32 v16, v5, v7 :: v_dual_fmac_f32 v17, v7, v4
	v_fmac_f32_e32 v16, v6, v4
	s_delay_alu instid0(VALU_DEP_3) | instskip(SKIP_2) | instid1(VALU_DEP_3)
	v_div_fmas_f32 v5, v12, v13, v15
	v_add_co_u32 v12, vcc_lo, s6, v8
	v_add_co_ci_u32_e32 v13, vcc_lo, s7, v9, vcc_lo
	v_div_fixup_f32 v14, v5, v14, 1.0
	v_add_co_u32 v8, vcc_lo, s2, v8
	global_load_b64 v[4:5], v[12:13], off
	s_waitcnt vmcnt(1)
	v_mul_f32_e32 v12, v11, v11
	v_dual_mul_f32 v6, v14, v16 :: v_dual_mul_f32 v7, v17, v14
	v_add_co_ci_u32_e32 v9, vcc_lo, s3, v9, vcc_lo
	s_delay_alu instid0(VALU_DEP_3) | instskip(NEXT) | instid1(VALU_DEP_1)
	v_fmac_f32_e32 v12, v10, v10
	v_div_scale_f32 v13, null, v12, v12, 1.0
	v_div_scale_f32 v16, vcc_lo, 1.0, v12, 1.0
	s_delay_alu instid0(VALU_DEP_2) | instskip(SKIP_2) | instid1(VALU_DEP_1)
	v_rcp_f32_e32 v14, v13
	s_waitcnt_depctr 0xfff
	v_fma_f32 v15, -v13, v14, 1.0
	v_fmac_f32_e32 v14, v15, v14
	s_delay_alu instid0(VALU_DEP_1) | instskip(SKIP_4) | instid1(VALU_DEP_1)
	v_mul_f32_e32 v15, v16, v14
	global_store_b64 v[2:3], v[6:7], off
	global_load_b64 v[2:3], v[8:9], off
	v_fma_f32 v17, -v13, v15, v16
	s_waitcnt vmcnt(1)
	v_dual_fmac_f32 v15, v17, v14 :: v_dual_mul_f32 v18, v7, v4
	v_mul_f32_e64 v7, v7, -v5
	s_delay_alu instid0(VALU_DEP_2) | instskip(NEXT) | instid1(VALU_DEP_2)
	v_fmac_f32_e32 v18, v5, v6
	v_fmac_f32_e32 v7, v4, v6
	s_delay_alu instid0(VALU_DEP_4) | instskip(NEXT) | instid1(VALU_DEP_1)
	v_fma_f32 v4, -v13, v15, v16
	v_div_fmas_f32 v4, v4, v14, v15
	s_waitcnt vmcnt(0)
	s_delay_alu instid0(VALU_DEP_3) | instskip(NEXT) | instid1(VALU_DEP_1)
	v_dual_sub_f32 v3, v3, v18 :: v_dual_sub_f32 v2, v2, v7
	v_mul_f32_e32 v5, v11, v3
	s_delay_alu instid0(VALU_DEP_2) | instskip(SKIP_1) | instid1(VALU_DEP_3)
	v_mul_f32_e64 v6, v11, -v2
	v_div_fixup_f32 v4, v4, v12, 1.0
	v_fmac_f32_e32 v5, v2, v10
	s_delay_alu instid0(VALU_DEP_3) | instskip(NEXT) | instid1(VALU_DEP_1)
	v_fmac_f32_e32 v6, v3, v10
	v_dual_mul_f32 v2, v4, v5 :: v_dual_mul_f32 v3, v6, v4
	global_store_b64 v[8:9], v[2:3], off
	s_cbranch_scc1 .LBB7_31
; %bb.29:
	s_add_i32 s10, s16, -3
	s_add_i32 s0, s16, -2
	s_mul_i32 s1, s17, s10
	s_mul_i32 s10, s18, s10
	v_add3_u32 v2, s14, s1, v0
	s_mul_i32 s1, s18, s0
.LBB7_30:                               ; =>This Inner Loop Header: Depth=1
	v_add_nc_u32_e32 v4, s10, v1
	s_delay_alu instid0(VALU_DEP_2)
	v_ashrrev_i32_e32 v3, 31, v2
	v_add_nc_u32_e32 v6, s1, v1
	v_add_nc_u32_e32 v8, s15, v1
	v_subrev_nc_u32_e32 v1, s18, v1
	v_ashrrev_i32_e32 v5, 31, v4
	v_lshlrev_b64 v[12:13], 3, v[2:3]
	v_ashrrev_i32_e32 v7, 31, v6
	v_ashrrev_i32_e32 v9, 31, v8
	v_subrev_nc_u32_e32 v2, s17, v2
	v_lshlrev_b64 v[4:5], 3, v[4:5]
	s_add_i32 s0, s0, -1
	v_lshlrev_b64 v[6:7], 3, v[6:7]
	v_lshlrev_b64 v[8:9], 3, v[8:9]
	s_cmp_lg_u32 s0, 0
	s_delay_alu instid0(VALU_DEP_3)
	v_add_co_u32 v10, vcc_lo, s4, v4
	v_add_co_ci_u32_e32 v11, vcc_lo, s5, v5, vcc_lo
	v_add_co_u32 v12, vcc_lo, s8, v12
	v_add_co_ci_u32_e32 v13, vcc_lo, s9, v13, vcc_lo
	;; [unrolled: 2-line block ×6, first 2 shown]
	global_load_b64 v[10:11], v[10:11], off
	global_load_b64 v[12:13], v[12:13], off
	;; [unrolled: 1-line block ×3, first 2 shown]
	s_clause 0x2
	global_load_b64 v[5:6], v[5:6], off
	global_load_b64 v[7:8], v[7:8], off
	;; [unrolled: 1-line block ×3, first 2 shown]
	s_waitcnt vmcnt(2)
	v_mul_f32_e64 v19, v6, -v4
	v_mul_f32_e32 v6, v6, v3
	s_waitcnt vmcnt(1)
	v_mul_f32_e64 v21, v8, -v13
	s_delay_alu instid0(VALU_DEP_3) | instskip(NEXT) | instid1(VALU_DEP_3)
	v_dual_mul_f32 v8, v8, v12 :: v_dual_fmac_f32 v19, v3, v5
	v_fmac_f32_e32 v6, v4, v5
	s_delay_alu instid0(VALU_DEP_3) | instskip(NEXT) | instid1(VALU_DEP_3)
	v_fmac_f32_e32 v21, v12, v7
	v_fmac_f32_e32 v8, v13, v7
	s_waitcnt vmcnt(0)
	s_delay_alu instid0(VALU_DEP_3) | instskip(SKIP_2) | instid1(VALU_DEP_3)
	v_sub_f32_e32 v4, v17, v6
	v_sub_f32_e32 v6, v16, v19
	v_mul_f32_e32 v0, v11, v11
	v_sub_f32_e32 v4, v4, v8
	s_delay_alu instid0(VALU_DEP_2) | instskip(NEXT) | instid1(VALU_DEP_1)
	v_fmac_f32_e32 v0, v10, v10
	v_div_scale_f32 v9, null, v0, v0, 1.0
	v_div_scale_f32 v22, vcc_lo, 1.0, v0, 1.0
	s_delay_alu instid0(VALU_DEP_2) | instskip(SKIP_2) | instid1(VALU_DEP_1)
	v_rcp_f32_e32 v18, v9
	s_waitcnt_depctr 0xfff
	v_fma_f32 v20, -v9, v18, 1.0
	v_fmac_f32_e32 v18, v20, v18
	s_delay_alu instid0(VALU_DEP_1) | instskip(NEXT) | instid1(VALU_DEP_1)
	v_mul_f32_e32 v3, v22, v18
	v_fma_f32 v5, -v9, v3, v22
	s_delay_alu instid0(VALU_DEP_1) | instskip(SKIP_1) | instid1(VALU_DEP_2)
	v_fmac_f32_e32 v3, v5, v18
	v_dual_sub_f32 v5, v6, v21 :: v_dual_mul_f32 v6, v11, v4
	v_fma_f32 v7, -v9, v3, v22
	s_delay_alu instid0(VALU_DEP_2) | instskip(NEXT) | instid1(VALU_DEP_3)
	v_mul_f32_e64 v8, v11, -v5
	v_fmac_f32_e32 v6, v5, v10
	s_delay_alu instid0(VALU_DEP_3) | instskip(NEXT) | instid1(VALU_DEP_3)
	v_div_fmas_f32 v3, v7, v18, v3
	v_fmac_f32_e32 v8, v4, v10
	s_delay_alu instid0(VALU_DEP_2) | instskip(NEXT) | instid1(VALU_DEP_1)
	v_div_fixup_f32 v0, v3, v0, 1.0
	v_mul_f32_e32 v3, v0, v6
	s_delay_alu instid0(VALU_DEP_3)
	v_mul_f32_e32 v4, v0, v8
	global_store_b64 v[14:15], v[3:4], off
	s_cbranch_scc1 .LBB7_30
.LBB7_31:
	s_nop 0
	s_sendmsg sendmsg(MSG_DEALLOC_VGPRS)
	s_endpgm
	.section	.rodata,"a",@progbits
	.p2align	6, 0x0
	.amdhsa_kernel _ZN9rocsparseL32gtsv_interleaved_batch_lu_kernelILj128E21rocsparse_complex_numIfEEEviiiPT0_S4_S4_S4_PiS4_
		.amdhsa_group_segment_fixed_size 0
		.amdhsa_private_segment_fixed_size 0
		.amdhsa_kernarg_size 64
		.amdhsa_user_sgpr_count 15
		.amdhsa_user_sgpr_dispatch_ptr 0
		.amdhsa_user_sgpr_queue_ptr 0
		.amdhsa_user_sgpr_kernarg_segment_ptr 1
		.amdhsa_user_sgpr_dispatch_id 0
		.amdhsa_user_sgpr_private_segment_size 0
		.amdhsa_wavefront_size32 1
		.amdhsa_uses_dynamic_stack 0
		.amdhsa_enable_private_segment 0
		.amdhsa_system_sgpr_workgroup_id_x 1
		.amdhsa_system_sgpr_workgroup_id_y 0
		.amdhsa_system_sgpr_workgroup_id_z 0
		.amdhsa_system_sgpr_workgroup_info 0
		.amdhsa_system_vgpr_workitem_id 0
		.amdhsa_next_free_vgpr 47
		.amdhsa_next_free_sgpr 22
		.amdhsa_reserve_vcc 1
		.amdhsa_float_round_mode_32 0
		.amdhsa_float_round_mode_16_64 0
		.amdhsa_float_denorm_mode_32 3
		.amdhsa_float_denorm_mode_16_64 3
		.amdhsa_dx10_clamp 1
		.amdhsa_ieee_mode 1
		.amdhsa_fp16_overflow 0
		.amdhsa_workgroup_processor_mode 1
		.amdhsa_memory_ordered 1
		.amdhsa_forward_progress 0
		.amdhsa_shared_vgpr_count 0
		.amdhsa_exception_fp_ieee_invalid_op 0
		.amdhsa_exception_fp_denorm_src 0
		.amdhsa_exception_fp_ieee_div_zero 0
		.amdhsa_exception_fp_ieee_overflow 0
		.amdhsa_exception_fp_ieee_underflow 0
		.amdhsa_exception_fp_ieee_inexact 0
		.amdhsa_exception_int_div_zero 0
	.end_amdhsa_kernel
	.section	.text._ZN9rocsparseL32gtsv_interleaved_batch_lu_kernelILj128E21rocsparse_complex_numIfEEEviiiPT0_S4_S4_S4_PiS4_,"axG",@progbits,_ZN9rocsparseL32gtsv_interleaved_batch_lu_kernelILj128E21rocsparse_complex_numIfEEEviiiPT0_S4_S4_S4_PiS4_,comdat
.Lfunc_end7:
	.size	_ZN9rocsparseL32gtsv_interleaved_batch_lu_kernelILj128E21rocsparse_complex_numIfEEEviiiPT0_S4_S4_S4_PiS4_, .Lfunc_end7-_ZN9rocsparseL32gtsv_interleaved_batch_lu_kernelILj128E21rocsparse_complex_numIfEEEviiiPT0_S4_S4_S4_PiS4_
                                        ; -- End function
	.section	.AMDGPU.csdata,"",@progbits
; Kernel info:
; codeLenInByte = 3716
; NumSgprs: 24
; NumVgprs: 47
; ScratchSize: 0
; MemoryBound: 0
; FloatMode: 240
; IeeeMode: 1
; LDSByteSize: 0 bytes/workgroup (compile time only)
; SGPRBlocks: 2
; VGPRBlocks: 5
; NumSGPRsForWavesPerEU: 24
; NumVGPRsForWavesPerEU: 47
; Occupancy: 16
; WaveLimiterHint : 0
; COMPUTE_PGM_RSRC2:SCRATCH_EN: 0
; COMPUTE_PGM_RSRC2:USER_SGPR: 15
; COMPUTE_PGM_RSRC2:TRAP_HANDLER: 0
; COMPUTE_PGM_RSRC2:TGID_X_EN: 1
; COMPUTE_PGM_RSRC2:TGID_Y_EN: 0
; COMPUTE_PGM_RSRC2:TGID_Z_EN: 0
; COMPUTE_PGM_RSRC2:TIDIG_COMP_CNT: 0
	.section	.text._ZN9rocsparseL32gtsv_interleaved_batch_qr_kernelILj128E21rocsparse_complex_numIfEEEviiiPKT0_PS3_S6_S6_S6_,"axG",@progbits,_ZN9rocsparseL32gtsv_interleaved_batch_qr_kernelILj128E21rocsparse_complex_numIfEEEviiiPKT0_PS3_S6_S6_S6_,comdat
	.globl	_ZN9rocsparseL32gtsv_interleaved_batch_qr_kernelILj128E21rocsparse_complex_numIfEEEviiiPKT0_PS3_S6_S6_S6_ ; -- Begin function _ZN9rocsparseL32gtsv_interleaved_batch_qr_kernelILj128E21rocsparse_complex_numIfEEEviiiPKT0_PS3_S6_S6_S6_
	.p2align	8
	.type	_ZN9rocsparseL32gtsv_interleaved_batch_qr_kernelILj128E21rocsparse_complex_numIfEEEviiiPKT0_PS3_S6_S6_S6_,@function
_ZN9rocsparseL32gtsv_interleaved_batch_qr_kernelILj128E21rocsparse_complex_numIfEEEviiiPKT0_PS3_S6_S6_S6_: ; @_ZN9rocsparseL32gtsv_interleaved_batch_qr_kernelILj128E21rocsparse_complex_numIfEEEviiiPKT0_PS3_S6_S6_S6_
; %bb.0:
	s_load_b128 s[16:19], s[0:1], 0x0
	s_lshl_b32 s12, s15, 7
	s_mov_b32 s2, exec_lo
	v_or_b32_e32 v1, s12, v0
	s_waitcnt lgkmcnt(0)
	s_delay_alu instid0(VALU_DEP_1)
	v_cmpx_gt_i32_e64 s17, v1
	s_cbranch_execz .LBB8_13
; %bb.1:
	s_load_b256 s[4:11], s[0:1], 0x18
	s_add_i32 s13, s16, -1
	s_cmp_lt_i32 s16, 2
	s_cbranch_scc1 .LBB8_10
; %bb.2:
	v_ashrrev_i32_e32 v2, 31, v1
	s_load_b64 s[2:3], s[0:1], 0x10
	v_mov_b32_e32 v8, v1
	s_mov_b32 s1, s13
	s_delay_alu instid0(VALU_DEP_2) | instskip(SKIP_1) | instid1(VALU_DEP_1)
	v_lshlrev_b64 v[2:3], 3, v[1:2]
	s_waitcnt lgkmcnt(0)
	v_add_co_u32 v4, vcc_lo, s4, v2
	s_delay_alu instid0(VALU_DEP_2)
	v_add_co_ci_u32_e32 v5, vcc_lo, s5, v3, vcc_lo
	v_add_co_u32 v6, vcc_lo, s6, v2
	v_add_co_ci_u32_e32 v7, vcc_lo, s7, v3, vcc_lo
	global_load_b32 v3, v[4:5], off offset:4
	global_load_b32 v5, v[6:7], off offset:4
	v_mov_b32_e32 v6, v1
	s_branch .LBB8_4
.LBB8_3:                                ;   in Loop: Header=BB8_4 Depth=1
	s_or_b32 exec_lo, exec_lo, s14
	v_add_co_u32 v25, vcc_lo, s10, v25
	v_add_co_ci_u32_e32 v26, vcc_lo, s11, v26, vcc_lo
	v_add_co_u32 v23, vcc_lo, s10, v23
	v_add_co_ci_u32_e32 v24, vcc_lo, s11, v24, vcc_lo
	global_load_b64 v[28:29], v[25:26], off
	v_mul_f32_e32 v7, 0x4f800000, v4
	v_cmp_gt_f32_e32 vcc_lo, 0xf800000, v4
	global_load_b64 v[30:31], v[23:24], off
	v_mul_f32_e32 v39, 0x80000000, v20
	s_add_i32 s1, s1, -1
	v_dual_mul_f32 v37, 0x80000000, v2 :: v_dual_cndmask_b32 v4, v4, v7
	s_cmp_eq_u32 s1, 0
	v_mul_f32_e32 v38, 0x80000000, v19
	s_delay_alu instid0(VALU_DEP_2) | instskip(SKIP_3) | instid1(VALU_DEP_2)
	v_sqrt_f32_e32 v7, v4
	s_waitcnt_depctr 0xfff
	v_add_nc_u32_e32 v32, -1, v7
	v_add_nc_u32_e32 v33, 1, v7
	v_fma_f32 v34, -v32, v7, v4
	s_delay_alu instid0(VALU_DEP_2) | instskip(NEXT) | instid1(VALU_DEP_2)
	v_fma_f32 v35, -v33, v7, v4
	v_cmp_ge_f32_e64 s0, 0, v34
	s_delay_alu instid0(VALU_DEP_1) | instskip(NEXT) | instid1(VALU_DEP_3)
	v_cndmask_b32_e64 v7, v7, v32, s0
	v_cmp_lt_f32_e64 s0, 0, v35
	s_delay_alu instid0(VALU_DEP_1) | instskip(NEXT) | instid1(VALU_DEP_1)
	v_cndmask_b32_e64 v7, v7, v33, s0
	v_mul_f32_e32 v32, 0x37800000, v7
	s_delay_alu instid0(VALU_DEP_1) | instskip(SKIP_1) | instid1(VALU_DEP_2)
	v_cndmask_b32_e32 v7, v7, v32, vcc_lo
	v_cmp_class_f32_e64 vcc_lo, v4, 0x260
	v_cndmask_b32_e32 v4, v7, v4, vcc_lo
	s_delay_alu instid0(VALU_DEP_1) | instskip(NEXT) | instid1(VALU_DEP_1)
	v_fma_f32 v34, v4, v4, 0
	v_div_scale_f32 v7, null, v34, v34, 1.0
	v_div_scale_f32 v35, vcc_lo, 1.0, v34, 1.0
	s_delay_alu instid0(VALU_DEP_2) | instskip(SKIP_2) | instid1(VALU_DEP_1)
	v_rcp_f32_e32 v32, v7
	s_waitcnt_depctr 0xfff
	v_fma_f32 v33, -v7, v32, 1.0
	v_fmac_f32_e32 v32, v33, v32
	s_delay_alu instid0(VALU_DEP_1) | instskip(NEXT) | instid1(VALU_DEP_1)
	v_mul_f32_e32 v33, v35, v32
	v_fma_f32 v36, -v7, v33, v35
	s_delay_alu instid0(VALU_DEP_1) | instskip(NEXT) | instid1(VALU_DEP_1)
	v_dual_fmac_f32 v33, v36, v32 :: v_dual_mul_f32 v36, 0x80000000, v3
	v_fma_f32 v35, -v7, v33, v35
	v_ashrrev_i32_e32 v7, 31, v6
	s_delay_alu instid0(VALU_DEP_2) | instskip(NEXT) | instid1(VALU_DEP_2)
	v_div_fmas_f32 v35, v35, v32, v33
	v_lshlrev_b64 v[32:33], 3, v[6:7]
	v_fma_f32 v7, -v20, v4, v38
	v_add_nc_u32_e32 v6, s17, v6
	s_delay_alu instid0(VALU_DEP_4) | instskip(SKIP_3) | instid1(VALU_DEP_4)
	v_div_fixup_f32 v34, v35, v34, 1.0
	v_fma_f32 v35, -v3, v4, v37
	v_add_co_u32 v32, vcc_lo, s8, v32
	v_add_co_ci_u32_e32 v33, vcc_lo, s9, v33, vcc_lo
	v_mul_f32_e32 v7, v7, v34
	s_delay_alu instid0(VALU_DEP_4) | instskip(SKIP_2) | instid1(VALU_DEP_4)
	v_mul_f32_e32 v40, v35, v34
	v_fmac_f32_e32 v39, v19, v4
	v_fmac_f32_e32 v36, v2, v4
	v_mul_f32_e64 v35, v7, -v20
	s_waitcnt vmcnt(4)
	v_mul_f32_e64 v44, v7, -v22
	v_mul_f32_e32 v39, v39, v34
	v_dual_mul_f32 v41, v36, v34 :: v_dual_mul_f32 v34, v7, v19
	v_mul_f32_e32 v42, v40, v22
	v_mul_f32_e64 v43, v21, -v40
	s_delay_alu instid0(VALU_DEP_4)
	v_fmac_f32_e32 v35, v19, v39
	s_waitcnt vmcnt(2)
	v_mul_f32_e64 v37, v7, -v18
	v_fmac_f32_e32 v34, v20, v39
	v_fmac_f32_e32 v42, v21, v41
	v_mul_f32_e32 v36, v7, v21
	v_fmac_f32_e32 v35, v2, v41
	s_delay_alu instid0(VALU_DEP_4) | instskip(NEXT) | instid1(VALU_DEP_4)
	v_dual_fmac_f32 v37, v17, v39 :: v_dual_fmac_f32 v34, v3, v41
	v_fma_f32 v19, -v27, v39, v42
	v_mul_f32_e32 v38, v7, v17
	v_fmac_f32_e32 v44, v21, v39
	v_dual_mul_f32 v4, v40, v18 :: v_dual_fmac_f32 v43, v22, v41
	v_fmac_f32_e32 v34, v2, v40
	v_fma_f32 v2, v5, -v7, v19
	s_waitcnt vmcnt(1)
	v_mul_f32_e32 v19, v7, v28
	v_mul_f32_e64 v21, -v40, v28
	v_fmac_f32_e32 v36, v22, v39
	s_delay_alu instid0(VALU_DEP_3) | instskip(NEXT) | instid1(VALU_DEP_3)
	v_dual_mul_f32 v20, v40, v29 :: v_dual_fmac_f32 v19, v29, v39
	v_dual_fmac_f32 v21, v29, v41 :: v_dual_fmac_f32 v38, v18, v39
	s_delay_alu instid0(VALU_DEP_3) | instskip(NEXT) | instid1(VALU_DEP_3)
	v_fmac_f32_e32 v36, v5, v41
	v_fmac_f32_e32 v20, v28, v41
	s_waitcnt vmcnt(0)
	v_fmac_f32_e32 v19, v31, v41
	v_fmac_f32_e32 v44, v27, v41
	global_store_b64 v[32:33], v[37:38], off
	v_fma_f32 v33, -v3, v40, v35
	v_fma_f32 v3, -v5, v39, v43
	v_dual_fmac_f32 v19, v30, v40 :: v_dual_fmac_f32 v4, v17, v41
	v_fma_f32 v35, -v5, v40, v44
	v_mul_f32_e64 v5, v17, -v40
	s_delay_alu instid0(VALU_DEP_4)
	v_fmac_f32_e32 v3, v27, v7
	v_mul_f32_e64 v17, v7, -v29
	global_store_b64 v[13:14], v[33:34], off
	v_fma_f32 v13, -v30, v39, v20
	v_fma_f32 v14, -v31, v39, v21
	v_dual_fmac_f32 v36, v27, v40 :: v_dual_fmac_f32 v5, v18, v41
	v_fmac_f32_e32 v17, v28, v39
	s_delay_alu instid0(VALU_DEP_4) | instskip(NEXT) | instid1(VALU_DEP_4)
	v_fma_f32 v13, v31, -v7, v13
	v_fmac_f32_e32 v14, v30, v7
	s_delay_alu instid0(VALU_DEP_3) | instskip(NEXT) | instid1(VALU_DEP_1)
	v_fmac_f32_e32 v17, v30, v41
	v_fma_f32 v18, -v31, v40, v17
	global_store_b64 v[9:10], v[35:36], off
	global_store_b64 v[11:12], v[2:3], off
	;; [unrolled: 1-line block ×3, first 2 shown]
	s_clause 0x1
	global_store_b64 v[23:24], v[18:19], off
	global_store_b64 v[25:26], v[13:14], off
	s_cbranch_scc1 .LBB8_10
.LBB8_4:                                ; =>This Inner Loop Header: Depth=1
	v_mov_b32_e32 v10, v8
	s_waitcnt vmcnt(1)
	v_mul_f32_e32 v28, v3, v3
	s_mov_b32 s0, exec_lo
	s_delay_alu instid0(VALU_DEP_2) | instskip(SKIP_1) | instid1(VALU_DEP_2)
	v_add_nc_u32_e32 v8, s18, v10
	v_ashrrev_i32_e32 v11, 31, v10
	v_ashrrev_i32_e32 v9, 31, v8
	s_delay_alu instid0(VALU_DEP_2) | instskip(NEXT) | instid1(VALU_DEP_2)
	v_lshlrev_b64 v[23:24], 3, v[10:11]
	v_lshlrev_b64 v[25:26], 3, v[8:9]
	s_delay_alu instid0(VALU_DEP_2) | instskip(NEXT) | instid1(VALU_DEP_3)
	v_add_co_u32 v13, vcc_lo, s4, v23
	v_add_co_ci_u32_e32 v14, vcc_lo, s5, v24, vcc_lo
	s_delay_alu instid0(VALU_DEP_3) | instskip(NEXT) | instid1(VALU_DEP_4)
	v_add_co_u32 v9, vcc_lo, s2, v25
	v_add_co_ci_u32_e32 v10, vcc_lo, s3, v26, vcc_lo
	global_load_b32 v2, v[13:14], off
	global_load_b64 v[19:20], v[9:10], off
	v_add_co_u32 v9, vcc_lo, s6, v23
	v_add_co_ci_u32_e32 v10, vcc_lo, s7, v24, vcc_lo
	v_add_co_u32 v11, vcc_lo, s4, v25
	v_add_co_ci_u32_e32 v12, vcc_lo, s5, v26, vcc_lo
	;; [unrolled: 2-line block ×3, first 2 shown]
	global_load_b64 v[21:22], v[11:12], off
	s_clause 0x1
	global_load_b32 v27, v[9:10], off
	global_load_b64 v[17:18], v[15:16], off
	s_waitcnt vmcnt(4)
	v_mul_f32_e64 v4, v2, -v3
	s_waitcnt vmcnt(3)
	v_mul_f32_e64 v7, v19, -v20
	v_mul_f32_e32 v30, v20, v20
	s_delay_alu instid0(VALU_DEP_2) | instskip(NEXT) | instid1(VALU_DEP_2)
	v_dual_fmac_f32 v28, v2, v2 :: v_dual_fmac_f32 v7, v20, v19
	v_fmac_f32_e32 v30, v19, v19
	v_fmac_f32_e32 v4, v3, v2
	s_delay_alu instid0(VALU_DEP_1) | instskip(NEXT) | instid1(VALU_DEP_3)
	v_add_f32_e32 v29, v7, v4
	v_add_f32_e32 v7, v30, v28
                                        ; implicit-def: $vgpr4
	s_delay_alu instid0(VALU_DEP_2) | instskip(SKIP_1) | instid1(VALU_DEP_1)
	v_cmp_gt_f32_e32 vcc_lo, 0, v29
	v_cndmask_b32_e64 v28, v29, -v29, vcc_lo
	v_cmpx_ngt_f32_e32 v7, v28
	s_xor_b32 s14, exec_lo, s0
	s_cbranch_execz .LBB8_8
; %bb.5:                                ;   in Loop: Header=BB8_4 Depth=1
	v_mov_b32_e32 v4, 0
	s_mov_b32 s15, exec_lo
	v_cmpx_neq_f32_e32 0, v29
	s_cbranch_execz .LBB8_7
; %bb.6:                                ;   in Loop: Header=BB8_4 Depth=1
	v_div_scale_f32 v4, null, v28, v28, v7
	v_div_scale_f32 v31, vcc_lo, v7, v28, v7
	s_delay_alu instid0(VALU_DEP_2) | instskip(SKIP_2) | instid1(VALU_DEP_1)
	v_rcp_f32_e32 v29, v4
	s_waitcnt_depctr 0xfff
	v_fma_f32 v30, -v4, v29, 1.0
	v_fmac_f32_e32 v29, v30, v29
	s_delay_alu instid0(VALU_DEP_1) | instskip(NEXT) | instid1(VALU_DEP_1)
	v_mul_f32_e32 v30, v31, v29
	v_fma_f32 v32, -v4, v30, v31
	s_delay_alu instid0(VALU_DEP_1) | instskip(NEXT) | instid1(VALU_DEP_1)
	v_fmac_f32_e32 v30, v32, v29
	v_fma_f32 v4, -v4, v30, v31
	s_delay_alu instid0(VALU_DEP_1) | instskip(NEXT) | instid1(VALU_DEP_1)
	v_div_fmas_f32 v4, v4, v29, v30
	v_div_fixup_f32 v4, v4, v28, v7
	s_delay_alu instid0(VALU_DEP_1) | instskip(NEXT) | instid1(VALU_DEP_1)
	v_fma_f32 v4, v4, v4, 1.0
	v_mul_f32_e32 v7, 0x4f800000, v4
	v_cmp_gt_f32_e32 vcc_lo, 0xf800000, v4
	s_delay_alu instid0(VALU_DEP_2) | instskip(NEXT) | instid1(VALU_DEP_1)
	v_cndmask_b32_e32 v4, v4, v7, vcc_lo
	v_sqrt_f32_e32 v7, v4
	s_waitcnt_depctr 0xfff
	v_add_nc_u32_e32 v29, -1, v7
	v_add_nc_u32_e32 v30, 1, v7
	s_delay_alu instid0(VALU_DEP_2) | instskip(NEXT) | instid1(VALU_DEP_2)
	v_fma_f32 v31, -v29, v7, v4
	v_fma_f32 v32, -v30, v7, v4
	s_delay_alu instid0(VALU_DEP_2) | instskip(NEXT) | instid1(VALU_DEP_1)
	v_cmp_ge_f32_e64 s0, 0, v31
	v_cndmask_b32_e64 v7, v7, v29, s0
	s_delay_alu instid0(VALU_DEP_3) | instskip(NEXT) | instid1(VALU_DEP_1)
	v_cmp_lt_f32_e64 s0, 0, v32
	v_cndmask_b32_e64 v7, v7, v30, s0
	s_delay_alu instid0(VALU_DEP_1) | instskip(NEXT) | instid1(VALU_DEP_1)
	v_mul_f32_e32 v29, 0x37800000, v7
	v_cndmask_b32_e32 v7, v7, v29, vcc_lo
	v_cmp_class_f32_e64 vcc_lo, v4, 0x260
	s_delay_alu instid0(VALU_DEP_2) | instskip(NEXT) | instid1(VALU_DEP_1)
	v_cndmask_b32_e32 v4, v7, v4, vcc_lo
	v_mul_f32_e32 v4, v28, v4
.LBB8_7:                                ;   in Loop: Header=BB8_4 Depth=1
	s_or_b32 exec_lo, exec_lo, s15
                                        ; implicit-def: $vgpr7
                                        ; implicit-def: $vgpr28
.LBB8_8:                                ;   in Loop: Header=BB8_4 Depth=1
	s_and_not1_saveexec_b32 s14, s14
	s_cbranch_execz .LBB8_3
; %bb.9:                                ;   in Loop: Header=BB8_4 Depth=1
	v_div_scale_f32 v4, null, v7, v7, v28
	v_div_scale_f32 v31, vcc_lo, v28, v7, v28
	s_delay_alu instid0(VALU_DEP_2) | instskip(SKIP_2) | instid1(VALU_DEP_1)
	v_rcp_f32_e32 v29, v4
	s_waitcnt_depctr 0xfff
	v_fma_f32 v30, -v4, v29, 1.0
	v_fmac_f32_e32 v29, v30, v29
	s_delay_alu instid0(VALU_DEP_1) | instskip(NEXT) | instid1(VALU_DEP_1)
	v_mul_f32_e32 v30, v31, v29
	v_fma_f32 v32, -v4, v30, v31
	s_delay_alu instid0(VALU_DEP_1) | instskip(NEXT) | instid1(VALU_DEP_1)
	v_fmac_f32_e32 v30, v32, v29
	v_fma_f32 v4, -v4, v30, v31
	s_delay_alu instid0(VALU_DEP_1) | instskip(NEXT) | instid1(VALU_DEP_1)
	v_div_fmas_f32 v4, v4, v29, v30
	v_div_fixup_f32 v4, v4, v7, v28
	s_delay_alu instid0(VALU_DEP_1) | instskip(NEXT) | instid1(VALU_DEP_1)
	v_fma_f32 v4, v4, v4, 1.0
	v_mul_f32_e32 v28, 0x4f800000, v4
	v_cmp_gt_f32_e32 vcc_lo, 0xf800000, v4
	s_delay_alu instid0(VALU_DEP_2) | instskip(NEXT) | instid1(VALU_DEP_1)
	v_cndmask_b32_e32 v4, v4, v28, vcc_lo
	v_sqrt_f32_e32 v28, v4
	s_waitcnt_depctr 0xfff
	v_add_nc_u32_e32 v29, -1, v28
	v_add_nc_u32_e32 v30, 1, v28
	s_delay_alu instid0(VALU_DEP_2) | instskip(NEXT) | instid1(VALU_DEP_2)
	v_fma_f32 v31, -v29, v28, v4
	v_fma_f32 v32, -v30, v28, v4
	s_delay_alu instid0(VALU_DEP_2) | instskip(NEXT) | instid1(VALU_DEP_1)
	v_cmp_ge_f32_e64 s0, 0, v31
	v_cndmask_b32_e64 v28, v28, v29, s0
	s_delay_alu instid0(VALU_DEP_3) | instskip(NEXT) | instid1(VALU_DEP_1)
	v_cmp_lt_f32_e64 s0, 0, v32
	v_cndmask_b32_e64 v28, v28, v30, s0
	s_delay_alu instid0(VALU_DEP_1) | instskip(NEXT) | instid1(VALU_DEP_1)
	v_mul_f32_e32 v29, 0x37800000, v28
	v_cndmask_b32_e32 v28, v28, v29, vcc_lo
	v_cmp_class_f32_e64 vcc_lo, v4, 0x260
	s_delay_alu instid0(VALU_DEP_2) | instskip(NEXT) | instid1(VALU_DEP_1)
	v_cndmask_b32_e32 v4, v28, v4, vcc_lo
	v_mul_f32_e32 v4, v7, v4
	s_branch .LBB8_3
.LBB8_10:
	s_mul_i32 s13, s13, s18
	s_delay_alu instid0(SALU_CYCLE_1) | instskip(SKIP_3) | instid1(VALU_DEP_2)
	v_add_nc_u32_e32 v2, s13, v1
	s_sub_i32 s0, s13, s18
	s_cmp_lt_i32 s16, 3
	v_add_nc_u32_e32 v8, s0, v1
	v_ashrrev_i32_e32 v3, 31, v2
	s_delay_alu instid0(VALU_DEP_2) | instskip(NEXT) | instid1(VALU_DEP_2)
	v_ashrrev_i32_e32 v9, 31, v8
	v_lshlrev_b64 v[2:3], 3, v[2:3]
	s_delay_alu instid0(VALU_DEP_2) | instskip(SKIP_1) | instid1(VALU_DEP_2)
	v_lshlrev_b64 v[8:9], 3, v[8:9]
	s_waitcnt lgkmcnt(0)
	v_add_co_u32 v4, vcc_lo, s4, v2
	s_delay_alu instid0(VALU_DEP_3)
	v_add_co_ci_u32_e32 v5, vcc_lo, s5, v3, vcc_lo
	v_add_co_u32 v2, vcc_lo, s10, v2
	v_add_co_ci_u32_e32 v3, vcc_lo, s11, v3, vcc_lo
	global_load_b64 v[4:5], v[4:5], off
	v_add_co_u32 v10, vcc_lo, s4, v8
	global_load_b64 v[6:7], v[2:3], off
	v_add_co_ci_u32_e32 v11, vcc_lo, s5, v9, vcc_lo
	global_load_b64 v[10:11], v[10:11], off
	s_waitcnt vmcnt(2)
	v_mul_f32_e32 v14, v5, v5
	s_delay_alu instid0(VALU_DEP_1) | instskip(NEXT) | instid1(VALU_DEP_1)
	v_fmac_f32_e32 v14, v4, v4
	v_div_scale_f32 v12, null, v14, v14, 1.0
	s_delay_alu instid0(VALU_DEP_1) | instskip(SKIP_2) | instid1(VALU_DEP_1)
	v_rcp_f32_e32 v13, v12
	s_waitcnt_depctr 0xfff
	v_fma_f32 v15, -v12, v13, 1.0
	v_fmac_f32_e32 v13, v15, v13
	v_div_scale_f32 v16, vcc_lo, 1.0, v14, 1.0
	s_delay_alu instid0(VALU_DEP_1) | instskip(NEXT) | instid1(VALU_DEP_1)
	v_mul_f32_e32 v15, v16, v13
	v_fma_f32 v17, -v12, v15, v16
	s_delay_alu instid0(VALU_DEP_1) | instskip(SKIP_2) | instid1(VALU_DEP_2)
	v_fmac_f32_e32 v15, v17, v13
	s_waitcnt vmcnt(1)
	v_mul_f32_e64 v17, v5, -v6
	v_fma_f32 v12, -v12, v15, v16
	s_delay_alu instid0(VALU_DEP_2) | instskip(NEXT) | instid1(VALU_DEP_1)
	v_dual_mul_f32 v16, v5, v7 :: v_dual_fmac_f32 v17, v7, v4
	v_fmac_f32_e32 v16, v6, v4
	s_delay_alu instid0(VALU_DEP_3) | instskip(SKIP_2) | instid1(VALU_DEP_3)
	v_div_fmas_f32 v5, v12, v13, v15
	v_add_co_u32 v12, vcc_lo, s6, v8
	v_add_co_ci_u32_e32 v13, vcc_lo, s7, v9, vcc_lo
	v_div_fixup_f32 v14, v5, v14, 1.0
	v_add_co_u32 v8, vcc_lo, s10, v8
	global_load_b64 v[4:5], v[12:13], off
	s_waitcnt vmcnt(1)
	v_mul_f32_e32 v12, v11, v11
	v_dual_mul_f32 v6, v14, v16 :: v_dual_mul_f32 v7, v17, v14
	v_add_co_ci_u32_e32 v9, vcc_lo, s11, v9, vcc_lo
	s_delay_alu instid0(VALU_DEP_3) | instskip(NEXT) | instid1(VALU_DEP_1)
	v_fmac_f32_e32 v12, v10, v10
	v_div_scale_f32 v13, null, v12, v12, 1.0
	v_div_scale_f32 v16, vcc_lo, 1.0, v12, 1.0
	s_delay_alu instid0(VALU_DEP_2) | instskip(SKIP_2) | instid1(VALU_DEP_1)
	v_rcp_f32_e32 v14, v13
	s_waitcnt_depctr 0xfff
	v_fma_f32 v15, -v13, v14, 1.0
	v_fmac_f32_e32 v14, v15, v14
	s_delay_alu instid0(VALU_DEP_1) | instskip(SKIP_4) | instid1(VALU_DEP_1)
	v_mul_f32_e32 v15, v16, v14
	global_store_b64 v[2:3], v[6:7], off
	global_load_b64 v[2:3], v[8:9], off
	v_fma_f32 v17, -v13, v15, v16
	s_waitcnt vmcnt(1)
	v_dual_fmac_f32 v15, v17, v14 :: v_dual_mul_f32 v18, v7, v4
	v_mul_f32_e64 v7, v7, -v5
	s_delay_alu instid0(VALU_DEP_2) | instskip(NEXT) | instid1(VALU_DEP_2)
	v_fmac_f32_e32 v18, v5, v6
	v_fmac_f32_e32 v7, v4, v6
	s_delay_alu instid0(VALU_DEP_4) | instskip(NEXT) | instid1(VALU_DEP_1)
	v_fma_f32 v4, -v13, v15, v16
	v_div_fmas_f32 v4, v4, v14, v15
	s_waitcnt vmcnt(0)
	s_delay_alu instid0(VALU_DEP_3) | instskip(NEXT) | instid1(VALU_DEP_1)
	v_dual_sub_f32 v3, v3, v18 :: v_dual_sub_f32 v2, v2, v7
	v_mul_f32_e32 v5, v11, v3
	s_delay_alu instid0(VALU_DEP_2) | instskip(SKIP_1) | instid1(VALU_DEP_3)
	v_mul_f32_e64 v6, v11, -v2
	v_div_fixup_f32 v4, v4, v12, 1.0
	v_fmac_f32_e32 v5, v2, v10
	s_delay_alu instid0(VALU_DEP_3) | instskip(NEXT) | instid1(VALU_DEP_1)
	v_fmac_f32_e32 v6, v3, v10
	v_dual_mul_f32 v2, v4, v5 :: v_dual_mul_f32 v3, v6, v4
	global_store_b64 v[8:9], v[2:3], off
	s_cbranch_scc1 .LBB8_13
; %bb.11:
	s_add_i32 s2, s16, -3
	s_add_i32 s0, s16, -2
	s_mul_i32 s1, s17, s2
	s_mul_i32 s2, s18, s2
	v_add3_u32 v2, s12, s1, v0
	s_mul_i32 s1, s18, s0
.LBB8_12:                               ; =>This Inner Loop Header: Depth=1
	v_add_nc_u32_e32 v4, s2, v1
	s_delay_alu instid0(VALU_DEP_2)
	v_ashrrev_i32_e32 v3, 31, v2
	v_add_nc_u32_e32 v6, s1, v1
	v_add_nc_u32_e32 v8, s13, v1
	v_subrev_nc_u32_e32 v1, s18, v1
	v_ashrrev_i32_e32 v5, 31, v4
	v_lshlrev_b64 v[12:13], 3, v[2:3]
	v_ashrrev_i32_e32 v7, 31, v6
	v_ashrrev_i32_e32 v9, 31, v8
	v_subrev_nc_u32_e32 v2, s17, v2
	v_lshlrev_b64 v[4:5], 3, v[4:5]
	s_add_i32 s0, s0, -1
	v_lshlrev_b64 v[6:7], 3, v[6:7]
	v_lshlrev_b64 v[8:9], 3, v[8:9]
	s_cmp_lg_u32 s0, 0
	s_delay_alu instid0(VALU_DEP_3)
	v_add_co_u32 v10, vcc_lo, s4, v4
	v_add_co_ci_u32_e32 v11, vcc_lo, s5, v5, vcc_lo
	v_add_co_u32 v12, vcc_lo, s8, v12
	v_add_co_ci_u32_e32 v13, vcc_lo, s9, v13, vcc_lo
	;; [unrolled: 2-line block ×6, first 2 shown]
	global_load_b64 v[10:11], v[10:11], off
	global_load_b64 v[12:13], v[12:13], off
	;; [unrolled: 1-line block ×3, first 2 shown]
	s_clause 0x2
	global_load_b64 v[5:6], v[5:6], off
	global_load_b64 v[7:8], v[7:8], off
	global_load_b64 v[16:17], v[14:15], off
	s_waitcnt vmcnt(2)
	v_mul_f32_e64 v19, v6, -v4
	v_mul_f32_e32 v6, v6, v3
	s_waitcnt vmcnt(1)
	v_mul_f32_e64 v21, v8, -v13
	s_delay_alu instid0(VALU_DEP_3) | instskip(NEXT) | instid1(VALU_DEP_3)
	v_dual_mul_f32 v8, v8, v12 :: v_dual_fmac_f32 v19, v3, v5
	v_fmac_f32_e32 v6, v4, v5
	s_delay_alu instid0(VALU_DEP_3) | instskip(NEXT) | instid1(VALU_DEP_3)
	v_fmac_f32_e32 v21, v12, v7
	v_fmac_f32_e32 v8, v13, v7
	s_waitcnt vmcnt(0)
	s_delay_alu instid0(VALU_DEP_3) | instskip(SKIP_2) | instid1(VALU_DEP_3)
	v_sub_f32_e32 v4, v17, v6
	v_sub_f32_e32 v6, v16, v19
	v_mul_f32_e32 v0, v11, v11
	v_sub_f32_e32 v4, v4, v8
	s_delay_alu instid0(VALU_DEP_2) | instskip(NEXT) | instid1(VALU_DEP_1)
	v_fmac_f32_e32 v0, v10, v10
	v_div_scale_f32 v9, null, v0, v0, 1.0
	v_div_scale_f32 v22, vcc_lo, 1.0, v0, 1.0
	s_delay_alu instid0(VALU_DEP_2) | instskip(SKIP_2) | instid1(VALU_DEP_1)
	v_rcp_f32_e32 v18, v9
	s_waitcnt_depctr 0xfff
	v_fma_f32 v20, -v9, v18, 1.0
	v_fmac_f32_e32 v18, v20, v18
	s_delay_alu instid0(VALU_DEP_1) | instskip(NEXT) | instid1(VALU_DEP_1)
	v_mul_f32_e32 v3, v22, v18
	v_fma_f32 v5, -v9, v3, v22
	s_delay_alu instid0(VALU_DEP_1) | instskip(SKIP_1) | instid1(VALU_DEP_2)
	v_fmac_f32_e32 v3, v5, v18
	v_dual_sub_f32 v5, v6, v21 :: v_dual_mul_f32 v6, v11, v4
	v_fma_f32 v7, -v9, v3, v22
	s_delay_alu instid0(VALU_DEP_2) | instskip(NEXT) | instid1(VALU_DEP_3)
	v_mul_f32_e64 v8, v11, -v5
	v_fmac_f32_e32 v6, v5, v10
	s_delay_alu instid0(VALU_DEP_3) | instskip(NEXT) | instid1(VALU_DEP_3)
	v_div_fmas_f32 v3, v7, v18, v3
	v_fmac_f32_e32 v8, v4, v10
	s_delay_alu instid0(VALU_DEP_2) | instskip(NEXT) | instid1(VALU_DEP_1)
	v_div_fixup_f32 v0, v3, v0, 1.0
	v_mul_f32_e32 v3, v0, v6
	s_delay_alu instid0(VALU_DEP_3)
	v_mul_f32_e32 v4, v0, v8
	global_store_b64 v[14:15], v[3:4], off
	s_cbranch_scc1 .LBB8_12
.LBB8_13:
	s_nop 0
	s_sendmsg sendmsg(MSG_DEALLOC_VGPRS)
	s_endpgm
	.section	.rodata,"a",@progbits
	.p2align	6, 0x0
	.amdhsa_kernel _ZN9rocsparseL32gtsv_interleaved_batch_qr_kernelILj128E21rocsparse_complex_numIfEEEviiiPKT0_PS3_S6_S6_S6_
		.amdhsa_group_segment_fixed_size 0
		.amdhsa_private_segment_fixed_size 0
		.amdhsa_kernarg_size 56
		.amdhsa_user_sgpr_count 15
		.amdhsa_user_sgpr_dispatch_ptr 0
		.amdhsa_user_sgpr_queue_ptr 0
		.amdhsa_user_sgpr_kernarg_segment_ptr 1
		.amdhsa_user_sgpr_dispatch_id 0
		.amdhsa_user_sgpr_private_segment_size 0
		.amdhsa_wavefront_size32 1
		.amdhsa_uses_dynamic_stack 0
		.amdhsa_enable_private_segment 0
		.amdhsa_system_sgpr_workgroup_id_x 1
		.amdhsa_system_sgpr_workgroup_id_y 0
		.amdhsa_system_sgpr_workgroup_id_z 0
		.amdhsa_system_sgpr_workgroup_info 0
		.amdhsa_system_vgpr_workitem_id 0
		.amdhsa_next_free_vgpr 45
		.amdhsa_next_free_sgpr 20
		.amdhsa_reserve_vcc 1
		.amdhsa_float_round_mode_32 0
		.amdhsa_float_round_mode_16_64 0
		.amdhsa_float_denorm_mode_32 3
		.amdhsa_float_denorm_mode_16_64 3
		.amdhsa_dx10_clamp 1
		.amdhsa_ieee_mode 1
		.amdhsa_fp16_overflow 0
		.amdhsa_workgroup_processor_mode 1
		.amdhsa_memory_ordered 1
		.amdhsa_forward_progress 0
		.amdhsa_shared_vgpr_count 0
		.amdhsa_exception_fp_ieee_invalid_op 0
		.amdhsa_exception_fp_denorm_src 0
		.amdhsa_exception_fp_ieee_div_zero 0
		.amdhsa_exception_fp_ieee_overflow 0
		.amdhsa_exception_fp_ieee_underflow 0
		.amdhsa_exception_fp_ieee_inexact 0
		.amdhsa_exception_int_div_zero 0
	.end_amdhsa_kernel
	.section	.text._ZN9rocsparseL32gtsv_interleaved_batch_qr_kernelILj128E21rocsparse_complex_numIfEEEviiiPKT0_PS3_S6_S6_S6_,"axG",@progbits,_ZN9rocsparseL32gtsv_interleaved_batch_qr_kernelILj128E21rocsparse_complex_numIfEEEviiiPKT0_PS3_S6_S6_S6_,comdat
.Lfunc_end8:
	.size	_ZN9rocsparseL32gtsv_interleaved_batch_qr_kernelILj128E21rocsparse_complex_numIfEEEviiiPKT0_PS3_S6_S6_S6_, .Lfunc_end8-_ZN9rocsparseL32gtsv_interleaved_batch_qr_kernelILj128E21rocsparse_complex_numIfEEEviiiPKT0_PS3_S6_S6_S6_
                                        ; -- End function
	.section	.AMDGPU.csdata,"",@progbits
; Kernel info:
; codeLenInByte = 2676
; NumSgprs: 22
; NumVgprs: 45
; ScratchSize: 0
; MemoryBound: 0
; FloatMode: 240
; IeeeMode: 1
; LDSByteSize: 0 bytes/workgroup (compile time only)
; SGPRBlocks: 2
; VGPRBlocks: 5
; NumSGPRsForWavesPerEU: 22
; NumVGPRsForWavesPerEU: 45
; Occupancy: 16
; WaveLimiterHint : 0
; COMPUTE_PGM_RSRC2:SCRATCH_EN: 0
; COMPUTE_PGM_RSRC2:USER_SGPR: 15
; COMPUTE_PGM_RSRC2:TRAP_HANDLER: 0
; COMPUTE_PGM_RSRC2:TGID_X_EN: 1
; COMPUTE_PGM_RSRC2:TGID_Y_EN: 0
; COMPUTE_PGM_RSRC2:TGID_Z_EN: 0
; COMPUTE_PGM_RSRC2:TIDIG_COMP_CNT: 0
	.section	.text._ZN9rocsparseL36gtsv_interleaved_batch_thomas_kernelILj128E21rocsparse_complex_numIdEEEviiiPKT0_S5_S5_PS3_S6_S6_,"axG",@progbits,_ZN9rocsparseL36gtsv_interleaved_batch_thomas_kernelILj128E21rocsparse_complex_numIdEEEviiiPKT0_S5_S5_PS3_S6_S6_,comdat
	.globl	_ZN9rocsparseL36gtsv_interleaved_batch_thomas_kernelILj128E21rocsparse_complex_numIdEEEviiiPKT0_S5_S5_PS3_S6_S6_ ; -- Begin function _ZN9rocsparseL36gtsv_interleaved_batch_thomas_kernelILj128E21rocsparse_complex_numIdEEEviiiPKT0_S5_S5_PS3_S6_S6_
	.p2align	8
	.type	_ZN9rocsparseL36gtsv_interleaved_batch_thomas_kernelILj128E21rocsparse_complex_numIdEEEviiiPKT0_S5_S5_PS3_S6_S6_,@function
_ZN9rocsparseL36gtsv_interleaved_batch_thomas_kernelILj128E21rocsparse_complex_numIdEEEviiiPKT0_S5_S5_PS3_S6_S6_: ; @_ZN9rocsparseL36gtsv_interleaved_batch_thomas_kernelILj128E21rocsparse_complex_numIdEEEviiiPKT0_S5_S5_PS3_S6_S6_
; %bb.0:
	s_load_b128 s[16:19], s[0:1], 0x0
	s_lshl_b32 s14, s15, 7
	s_mov_b32 s2, exec_lo
	v_or_b32_e32 v1, s14, v0
	s_waitcnt lgkmcnt(0)
	s_delay_alu instid0(VALU_DEP_1)
	v_cmpx_gt_i32_e64 s17, v1
	s_cbranch_execz .LBB9_8
; %bb.1:
	s_load_b256 s[4:11], s[0:1], 0x18
	v_ashrrev_i32_e32 v2, 31, v1
	s_load_b64 s[12:13], s[0:1], 0x38
	s_mov_b32 s2, -1
	s_cmp_lt_i32 s16, 2
	s_delay_alu instid0(VALU_DEP_1) | instskip(SKIP_1) | instid1(VALU_DEP_1)
	v_lshlrev_b64 v[7:8], 4, v[1:2]
	s_waitcnt lgkmcnt(0)
	v_add_co_u32 v1, vcc_lo, s4, v7
	s_delay_alu instid0(VALU_DEP_2)
	v_add_co_ci_u32_e32 v2, vcc_lo, s5, v8, vcc_lo
	v_add_co_u32 v9, vcc_lo, s6, v7
	v_add_co_ci_u32_e32 v10, vcc_lo, s7, v8, vcc_lo
	global_load_b128 v[3:6], v[1:2], off
	s_waitcnt vmcnt(0)
	v_mul_f64 v[1:2], v[5:6], v[5:6]
	s_delay_alu instid0(VALU_DEP_1)
	v_fma_f64 v[17:18], v[3:4], v[3:4], v[1:2]
	v_add_co_u32 v1, vcc_lo, s12, v7
	v_add_co_ci_u32_e32 v2, vcc_lo, s13, v8, vcc_lo
	global_load_b128 v[9:12], v[9:10], off
	global_load_b128 v[13:16], v[1:2], off
	v_div_scale_f64 v[19:20], null, v[17:18], v[17:18], 1.0
	v_div_scale_f64 v[25:26], vcc_lo, 1.0, v[17:18], 1.0
	s_delay_alu instid0(VALU_DEP_2) | instskip(SKIP_2) | instid1(VALU_DEP_1)
	v_rcp_f64_e32 v[21:22], v[19:20]
	s_waitcnt_depctr 0xfff
	v_fma_f64 v[23:24], -v[19:20], v[21:22], 1.0
	v_fma_f64 v[21:22], v[21:22], v[23:24], v[21:22]
	s_delay_alu instid0(VALU_DEP_1) | instskip(NEXT) | instid1(VALU_DEP_1)
	v_fma_f64 v[23:24], -v[19:20], v[21:22], 1.0
	v_fma_f64 v[21:22], v[21:22], v[23:24], v[21:22]
	s_delay_alu instid0(VALU_DEP_1) | instskip(NEXT) | instid1(VALU_DEP_1)
	v_mul_f64 v[23:24], v[25:26], v[21:22]
	v_fma_f64 v[19:20], -v[19:20], v[23:24], v[25:26]
	s_waitcnt vmcnt(1)
	v_mul_f64 v[25:26], v[5:6], v[11:12]
	s_delay_alu instid0(VALU_DEP_2)
	v_div_fmas_f64 v[19:20], v[19:20], v[21:22], v[23:24]
	v_mul_f64 v[21:22], v[5:6], -v[9:10]
	s_waitcnt vmcnt(0)
	v_mul_f64 v[23:24], v[5:6], v[15:16]
	v_mul_f64 v[5:6], v[5:6], -v[13:14]
	v_fma_f64 v[9:10], v[9:10], v[3:4], v[25:26]
	v_div_fixup_f64 v[17:18], v[19:20], v[17:18], 1.0
	v_fma_f64 v[11:12], v[11:12], v[3:4], v[21:22]
	v_fma_f64 v[13:14], v[13:14], v[3:4], v[23:24]
	;; [unrolled: 1-line block ×3, first 2 shown]
	s_delay_alu instid0(VALU_DEP_4) | instskip(NEXT) | instid1(VALU_DEP_4)
	v_mul_f64 v[9:10], v[17:18], v[9:10]
	v_mul_f64 v[11:12], v[17:18], v[11:12]
	s_delay_alu instid0(VALU_DEP_4) | instskip(NEXT) | instid1(VALU_DEP_4)
	v_mul_f64 v[13:14], v[17:18], v[13:14]
	v_mul_f64 v[15:16], v[17:18], v[3:4]
	v_add_co_u32 v3, vcc_lo, s8, v7
	v_add_co_ci_u32_e32 v4, vcc_lo, s9, v8, vcc_lo
	v_add_co_u32 v5, vcc_lo, s10, v7
	v_add_co_ci_u32_e32 v6, vcc_lo, s11, v8, vcc_lo
	global_store_b128 v[3:4], v[9:12], off
	global_store_b128 v[5:6], v[13:16], off
	s_cbranch_scc0 .LBB9_3
; %bb.2:
	s_add_i32 s15, s16, -1
	s_delay_alu instid0(SALU_CYCLE_1) | instskip(NEXT) | instid1(SALU_CYCLE_1)
	s_mul_i32 s2, s15, s17
	s_ashr_i32 s3, s2, 31
	s_delay_alu instid0(SALU_CYCLE_1) | instskip(NEXT) | instid1(SALU_CYCLE_1)
	s_lshl_b64 s[2:3], s[2:3], 4
	v_add_co_u32 v9, vcc_lo, v5, s2
	v_add_co_ci_u32_e32 v10, vcc_lo, s3, v6, vcc_lo
	s_mul_i32 s2, s15, s18
	s_delay_alu instid0(SALU_CYCLE_1) | instskip(SKIP_2) | instid1(SALU_CYCLE_1)
	s_ashr_i32 s3, s2, 31
	global_load_b128 v[9:12], v[9:10], off
	s_lshl_b64 s[2:3], s[2:3], 4
	v_add_co_u32 v13, vcc_lo, v1, s2
	v_add_co_ci_u32_e32 v14, vcc_lo, s3, v2, vcc_lo
	s_mov_b32 s2, 0
	s_waitcnt vmcnt(0)
	global_store_b128 v[13:14], v[9:12], off
.LBB9_3:
	s_and_not1_b32 vcc_lo, exec_lo, s2
	s_cbranch_vccnz .LBB9_8
; %bb.4:
	s_ashr_i32 s19, s18, 31
	s_load_b64 s[0:1], s[0:1], 0x10
	s_lshl_b64 s[2:3], s[18:19], 4
	s_add_i32 s19, s16, -1
	s_or_b32 s15, s2, 8
	s_mov_b32 s22, s17
	s_add_u32 s20, s12, s15
	s_addc_u32 s21, s13, s3
	s_ashr_i32 s23, s17, 31
	v_add3_u32 v9, s14, s18, v0
	s_lshl_b64 s[12:13], s[22:23], 4
	s_mov_b32 s14, 0
	s_or_b32 s24, s12, 8
	s_delay_alu instid0(SALU_CYCLE_1)
	s_add_u32 s8, s8, s24
	s_addc_u32 s9, s9, s13
	s_add_u32 s22, s4, s15
	s_addc_u32 s23, s5, s3
	;; [unrolled: 2-line block ×4, first 2 shown]
	s_mov_b32 s24, s19
.LBB9_5:                                ; =>This Inner Loop Header: Depth=1
	v_ashrrev_i32_e32 v10, 31, v9
	s_ashr_i32 s15, s14, 31
	s_add_i32 s24, s24, -1
	s_lshl_b64 s[4:5], s[14:15], 4
	s_add_i32 s14, s14, s17
	v_lshlrev_b64 v[10:11], 4, v[9:10]
	v_add_co_u32 v22, vcc_lo, v3, s4
	v_add_co_ci_u32_e32 v23, vcc_lo, s5, v4, vcc_lo
	v_add_nc_u32_e32 v9, s18, v9
	s_waitcnt lgkmcnt(0)
	s_delay_alu instid0(VALU_DEP_4)
	v_add_co_u32 v14, vcc_lo, s0, v10
	v_add_co_ci_u32_e32 v15, vcc_lo, s1, v11, vcc_lo
	v_add_co_u32 v18, vcc_lo, s22, v7
	global_load_b128 v[10:13], v[22:23], off
	global_load_b128 v[14:17], v[14:15], off
	v_add_co_ci_u32_e32 v19, vcc_lo, s23, v8, vcc_lo
	global_load_b128 v[18:21], v[18:19], off offset:-8
	s_waitcnt vmcnt(1)
	v_mul_f64 v[24:25], v[16:17], v[10:11]
	v_mul_f64 v[26:27], v[16:17], -v[12:13]
	s_delay_alu instid0(VALU_DEP_2) | instskip(NEXT) | instid1(VALU_DEP_2)
	v_fma_f64 v[12:13], v[12:13], v[14:15], v[24:25]
	v_fma_f64 v[10:11], v[10:11], v[14:15], v[26:27]
	s_waitcnt vmcnt(0)
	s_delay_alu instid0(VALU_DEP_2) | instskip(NEXT) | instid1(VALU_DEP_2)
	v_add_f64 v[24:25], v[20:21], -v[12:13]
	v_add_f64 v[26:27], v[18:19], -v[10:11]
	s_delay_alu instid0(VALU_DEP_2) | instskip(NEXT) | instid1(VALU_DEP_1)
	v_mul_f64 v[10:11], v[24:25], v[24:25]
	v_fma_f64 v[28:29], v[26:27], v[26:27], v[10:11]
	v_add_co_u32 v10, vcc_lo, s6, v7
	v_add_co_ci_u32_e32 v11, vcc_lo, s7, v8, vcc_lo
	global_load_b128 v[10:13], v[10:11], off offset:-8
	v_div_scale_f64 v[30:31], null, v[28:29], v[28:29], 1.0
	v_div_scale_f64 v[36:37], vcc_lo, 1.0, v[28:29], 1.0
	s_delay_alu instid0(VALU_DEP_2) | instskip(SKIP_2) | instid1(VALU_DEP_1)
	v_rcp_f64_e32 v[32:33], v[30:31]
	s_waitcnt_depctr 0xfff
	v_fma_f64 v[34:35], -v[30:31], v[32:33], 1.0
	v_fma_f64 v[32:33], v[32:33], v[34:35], v[32:33]
	s_delay_alu instid0(VALU_DEP_1) | instskip(NEXT) | instid1(VALU_DEP_1)
	v_fma_f64 v[34:35], -v[30:31], v[32:33], 1.0
	v_fma_f64 v[32:33], v[32:33], v[34:35], v[32:33]
	s_delay_alu instid0(VALU_DEP_1) | instskip(NEXT) | instid1(VALU_DEP_1)
	v_mul_f64 v[34:35], v[36:37], v[32:33]
	v_fma_f64 v[30:31], -v[30:31], v[34:35], v[36:37]
	s_waitcnt vmcnt(0)
	v_mul_f64 v[36:37], v[12:13], v[24:25]
	v_mul_f64 v[24:25], v[24:25], -v[10:11]
	s_delay_alu instid0(VALU_DEP_3) | instskip(NEXT) | instid1(VALU_DEP_3)
	v_div_fmas_f64 v[30:31], v[30:31], v[32:33], v[34:35]
	v_fma_f64 v[10:11], v[10:11], v[26:27], v[36:37]
	s_delay_alu instid0(VALU_DEP_3) | instskip(NEXT) | instid1(VALU_DEP_3)
	v_fma_f64 v[12:13], v[12:13], v[26:27], v[24:25]
	v_div_fixup_f64 v[24:25], v[30:31], v[28:29], 1.0
	s_delay_alu instid0(VALU_DEP_1) | instskip(NEXT) | instid1(VALU_DEP_3)
	v_mul_f64 v[10:11], v[10:11], v[24:25]
	v_mul_f64 v[12:13], v[12:13], v[24:25]
	v_add_co_u32 v24, vcc_lo, s8, v7
	v_add_co_ci_u32_e32 v25, vcc_lo, s9, v8, vcc_lo
	global_store_b128 v[24:25], v[10:13], off offset:-8
	global_load_b128 v[10:13], v[22:23], off
	s_waitcnt vmcnt(0)
	v_mul_f64 v[22:23], v[16:17], v[10:11]
	v_mul_f64 v[26:27], v[16:17], -v[12:13]
	s_delay_alu instid0(VALU_DEP_2) | instskip(SKIP_2) | instid1(VALU_DEP_4)
	v_fma_f64 v[12:13], v[12:13], v[14:15], v[22:23]
	v_add_co_u32 v22, vcc_lo, v5, s4
	v_add_co_ci_u32_e32 v23, vcc_lo, s5, v6, vcc_lo
	v_fma_f64 v[10:11], v[10:11], v[14:15], v[26:27]
	global_load_b128 v[22:25], v[22:23], off
	v_add_f64 v[20:21], v[20:21], -v[12:13]
	v_add_f64 v[18:19], v[18:19], -v[10:11]
	v_add_co_u32 v10, vcc_lo, s20, v7
	v_add_co_ci_u32_e32 v11, vcc_lo, s21, v8, vcc_lo
	s_add_u32 s20, s20, s2
	s_addc_u32 s21, s21, s3
	s_add_u32 s8, s8, s12
	global_load_b128 v[10:13], v[10:11], off offset:-8
	s_addc_u32 s9, s9, s13
	s_add_u32 s22, s22, s2
	s_addc_u32 s23, s23, s3
	v_mul_f64 v[26:27], v[20:21], v[20:21]
	s_delay_alu instid0(VALU_DEP_1) | instskip(NEXT) | instid1(VALU_DEP_1)
	v_fma_f64 v[26:27], v[18:19], v[18:19], v[26:27]
	v_div_scale_f64 v[28:29], null, v[26:27], v[26:27], 1.0
	v_div_scale_f64 v[36:37], vcc_lo, 1.0, v[26:27], 1.0
	s_delay_alu instid0(VALU_DEP_2) | instskip(SKIP_2) | instid1(VALU_DEP_1)
	v_rcp_f64_e32 v[30:31], v[28:29]
	s_waitcnt_depctr 0xfff
	v_fma_f64 v[32:33], -v[28:29], v[30:31], 1.0
	v_fma_f64 v[30:31], v[30:31], v[32:33], v[30:31]
	s_delay_alu instid0(VALU_DEP_1) | instskip(SKIP_3) | instid1(VALU_DEP_3)
	v_fma_f64 v[32:33], -v[28:29], v[30:31], 1.0
	s_waitcnt vmcnt(1)
	v_mul_f64 v[34:35], v[16:17], v[22:23]
	v_mul_f64 v[16:17], v[16:17], -v[24:25]
	v_fma_f64 v[30:31], v[30:31], v[32:33], v[30:31]
	s_delay_alu instid0(VALU_DEP_3) | instskip(NEXT) | instid1(VALU_DEP_3)
	v_fma_f64 v[24:25], v[24:25], v[14:15], v[34:35]
	v_fma_f64 v[14:15], v[22:23], v[14:15], v[16:17]
	s_delay_alu instid0(VALU_DEP_3) | instskip(SKIP_1) | instid1(VALU_DEP_3)
	v_mul_f64 v[16:17], v[36:37], v[30:31]
	s_waitcnt vmcnt(0)
	v_add_f64 v[12:13], v[12:13], -v[24:25]
	s_delay_alu instid0(VALU_DEP_3) | instskip(NEXT) | instid1(VALU_DEP_3)
	v_add_f64 v[10:11], v[10:11], -v[14:15]
	v_fma_f64 v[14:15], -v[28:29], v[16:17], v[36:37]
	s_delay_alu instid0(VALU_DEP_3) | instskip(NEXT) | instid1(VALU_DEP_3)
	v_mul_f64 v[22:23], v[12:13], v[20:21]
	v_mul_f64 v[20:21], v[20:21], -v[10:11]
	s_delay_alu instid0(VALU_DEP_3) | instskip(NEXT) | instid1(VALU_DEP_3)
	v_div_fmas_f64 v[14:15], v[14:15], v[30:31], v[16:17]
	v_fma_f64 v[10:11], v[10:11], v[18:19], v[22:23]
	s_delay_alu instid0(VALU_DEP_3) | instskip(NEXT) | instid1(VALU_DEP_3)
	v_fma_f64 v[12:13], v[12:13], v[18:19], v[20:21]
	v_div_fixup_f64 v[14:15], v[14:15], v[26:27], 1.0
	s_delay_alu instid0(VALU_DEP_1) | instskip(NEXT) | instid1(VALU_DEP_3)
	v_mul_f64 v[10:11], v[10:11], v[14:15]
	v_mul_f64 v[12:13], v[12:13], v[14:15]
	v_add_co_u32 v14, vcc_lo, s10, v7
	s_add_u32 s10, s10, s12
	v_add_co_ci_u32_e32 v15, vcc_lo, s11, v8, vcc_lo
	s_addc_u32 s11, s11, s13
	s_add_u32 s6, s6, s2
	s_addc_u32 s7, s7, s3
	s_cmp_eq_u32 s24, 0
	global_store_b128 v[14:15], v[10:13], off offset:-8
	s_cbranch_scc0 .LBB9_5
; %bb.6:
	s_mul_i32 s0, s19, s17
	s_mov_b32 s4, 0
	s_ashr_i32 s1, s0, 31
	s_delay_alu instid0(SALU_CYCLE_1) | instskip(NEXT) | instid1(SALU_CYCLE_1)
	s_lshl_b64 s[0:1], s[0:1], 4
	v_add_co_u32 v7, vcc_lo, v5, s0
	v_add_co_ci_u32_e32 v8, vcc_lo, s1, v6, vcc_lo
	s_mul_i32 s0, s19, s18
	s_delay_alu instid0(SALU_CYCLE_1) | instskip(SKIP_2) | instid1(SALU_CYCLE_1)
	s_ashr_i32 s1, s0, 31
	global_load_b128 v[7:10], v[7:8], off
	s_lshl_b64 s[2:3], s[0:1], 4
	v_add_co_u32 v11, vcc_lo, v1, s2
	v_add_co_ci_u32_e32 v12, vcc_lo, s3, v2, vcc_lo
	s_add_i32 s2, s16, -2
	s_delay_alu instid0(SALU_CYCLE_1)
	s_mul_i32 s1, s18, s2
	s_mul_i32 s2, s17, s2
	s_waitcnt vmcnt(0)
	global_store_b128 v[11:12], v[7:10], off
	s_set_inst_prefetch_distance 0x1
	.p2align	6
.LBB9_7:                                ; =>This Inner Loop Header: Depth=1
	s_ashr_i32 s3, s2, 31
	s_add_i32 s6, s0, s4
	s_lshl_b64 s[8:9], s[2:3], 4
	s_ashr_i32 s7, s6, 31
	v_add_co_u32 v7, vcc_lo, v3, s8
	s_lshl_b64 s[6:7], s[6:7], 4
	v_add_co_ci_u32_e32 v8, vcc_lo, s9, v4, vcc_lo
	v_add_co_u32 v11, vcc_lo, v1, s6
	v_add_co_ci_u32_e32 v12, vcc_lo, s7, v2, vcc_lo
	global_load_b128 v[7:10], v[7:8], off
	global_load_b128 v[11:14], v[11:12], off
	v_add_co_u32 v15, vcc_lo, v5, s8
	v_add_co_ci_u32_e32 v16, vcc_lo, s9, v6, vcc_lo
	s_add_i32 s6, s1, s4
	s_add_i32 s19, s19, -1
	s_ashr_i32 s7, s6, 31
	global_load_b128 v[15:18], v[15:16], off
	s_lshl_b64 s[6:7], s[6:7], 4
	s_sub_i32 s4, s4, s18
	s_sub_i32 s2, s2, s17
	s_cmp_eq_u32 s19, 0
	s_waitcnt vmcnt(1)
	v_mul_f64 v[19:20], v[13:14], -v[9:10]
	v_mul_f64 v[13:14], v[13:14], v[7:8]
	s_delay_alu instid0(VALU_DEP_2) | instskip(NEXT) | instid1(VALU_DEP_2)
	v_fma_f64 v[7:8], v[7:8], v[11:12], v[19:20]
	v_fma_f64 v[9:10], v[9:10], v[11:12], v[13:14]
	v_add_co_u32 v11, vcc_lo, v1, s6
	v_add_co_ci_u32_e32 v12, vcc_lo, s7, v2, vcc_lo
	s_waitcnt vmcnt(0)
	s_delay_alu instid0(VALU_DEP_4) | instskip(NEXT) | instid1(VALU_DEP_4)
	v_add_f64 v[7:8], v[15:16], -v[7:8]
	v_add_f64 v[9:10], v[17:18], -v[9:10]
	global_store_b128 v[11:12], v[7:10], off
	s_cbranch_scc0 .LBB9_7
.LBB9_8:
	s_set_inst_prefetch_distance 0x2
	s_nop 0
	s_sendmsg sendmsg(MSG_DEALLOC_VGPRS)
	s_endpgm
	.section	.rodata,"a",@progbits
	.p2align	6, 0x0
	.amdhsa_kernel _ZN9rocsparseL36gtsv_interleaved_batch_thomas_kernelILj128E21rocsparse_complex_numIdEEEviiiPKT0_S5_S5_PS3_S6_S6_
		.amdhsa_group_segment_fixed_size 0
		.amdhsa_private_segment_fixed_size 0
		.amdhsa_kernarg_size 64
		.amdhsa_user_sgpr_count 15
		.amdhsa_user_sgpr_dispatch_ptr 0
		.amdhsa_user_sgpr_queue_ptr 0
		.amdhsa_user_sgpr_kernarg_segment_ptr 1
		.amdhsa_user_sgpr_dispatch_id 0
		.amdhsa_user_sgpr_private_segment_size 0
		.amdhsa_wavefront_size32 1
		.amdhsa_uses_dynamic_stack 0
		.amdhsa_enable_private_segment 0
		.amdhsa_system_sgpr_workgroup_id_x 1
		.amdhsa_system_sgpr_workgroup_id_y 0
		.amdhsa_system_sgpr_workgroup_id_z 0
		.amdhsa_system_sgpr_workgroup_info 0
		.amdhsa_system_vgpr_workitem_id 0
		.amdhsa_next_free_vgpr 38
		.amdhsa_next_free_sgpr 25
		.amdhsa_reserve_vcc 1
		.amdhsa_float_round_mode_32 0
		.amdhsa_float_round_mode_16_64 0
		.amdhsa_float_denorm_mode_32 3
		.amdhsa_float_denorm_mode_16_64 3
		.amdhsa_dx10_clamp 1
		.amdhsa_ieee_mode 1
		.amdhsa_fp16_overflow 0
		.amdhsa_workgroup_processor_mode 1
		.amdhsa_memory_ordered 1
		.amdhsa_forward_progress 0
		.amdhsa_shared_vgpr_count 0
		.amdhsa_exception_fp_ieee_invalid_op 0
		.amdhsa_exception_fp_denorm_src 0
		.amdhsa_exception_fp_ieee_div_zero 0
		.amdhsa_exception_fp_ieee_overflow 0
		.amdhsa_exception_fp_ieee_underflow 0
		.amdhsa_exception_fp_ieee_inexact 0
		.amdhsa_exception_int_div_zero 0
	.end_amdhsa_kernel
	.section	.text._ZN9rocsparseL36gtsv_interleaved_batch_thomas_kernelILj128E21rocsparse_complex_numIdEEEviiiPKT0_S5_S5_PS3_S6_S6_,"axG",@progbits,_ZN9rocsparseL36gtsv_interleaved_batch_thomas_kernelILj128E21rocsparse_complex_numIdEEEviiiPKT0_S5_S5_PS3_S6_S6_,comdat
.Lfunc_end9:
	.size	_ZN9rocsparseL36gtsv_interleaved_batch_thomas_kernelILj128E21rocsparse_complex_numIdEEEviiiPKT0_S5_S5_PS3_S6_S6_, .Lfunc_end9-_ZN9rocsparseL36gtsv_interleaved_batch_thomas_kernelILj128E21rocsparse_complex_numIdEEEviiiPKT0_S5_S5_PS3_S6_S6_
                                        ; -- End function
	.section	.AMDGPU.csdata,"",@progbits
; Kernel info:
; codeLenInByte = 1748
; NumSgprs: 27
; NumVgprs: 38
; ScratchSize: 0
; MemoryBound: 0
; FloatMode: 240
; IeeeMode: 1
; LDSByteSize: 0 bytes/workgroup (compile time only)
; SGPRBlocks: 3
; VGPRBlocks: 4
; NumSGPRsForWavesPerEU: 27
; NumVGPRsForWavesPerEU: 38
; Occupancy: 16
; WaveLimiterHint : 0
; COMPUTE_PGM_RSRC2:SCRATCH_EN: 0
; COMPUTE_PGM_RSRC2:USER_SGPR: 15
; COMPUTE_PGM_RSRC2:TRAP_HANDLER: 0
; COMPUTE_PGM_RSRC2:TGID_X_EN: 1
; COMPUTE_PGM_RSRC2:TGID_Y_EN: 0
; COMPUTE_PGM_RSRC2:TGID_Z_EN: 0
; COMPUTE_PGM_RSRC2:TIDIG_COMP_CNT: 0
	.section	.text._ZN9rocsparseL32gtsv_interleaved_batch_lu_kernelILj128E21rocsparse_complex_numIdEEEviiiPT0_S4_S4_S4_PiS4_,"axG",@progbits,_ZN9rocsparseL32gtsv_interleaved_batch_lu_kernelILj128E21rocsparse_complex_numIdEEEviiiPT0_S4_S4_S4_PiS4_,comdat
	.globl	_ZN9rocsparseL32gtsv_interleaved_batch_lu_kernelILj128E21rocsparse_complex_numIdEEEviiiPT0_S4_S4_S4_PiS4_ ; -- Begin function _ZN9rocsparseL32gtsv_interleaved_batch_lu_kernelILj128E21rocsparse_complex_numIdEEEviiiPT0_S4_S4_S4_PiS4_
	.p2align	8
	.type	_ZN9rocsparseL32gtsv_interleaved_batch_lu_kernelILj128E21rocsparse_complex_numIdEEEviiiPT0_S4_S4_S4_PiS4_,@function
_ZN9rocsparseL32gtsv_interleaved_batch_lu_kernelILj128E21rocsparse_complex_numIdEEEviiiPT0_S4_S4_S4_PiS4_: ; @_ZN9rocsparseL32gtsv_interleaved_batch_lu_kernelILj128E21rocsparse_complex_numIdEEEviiiPT0_S4_S4_S4_PiS4_
; %bb.0:
	s_load_b128 s[16:19], s[2:3], 0x0
	v_and_b32_e32 v27, 0x3ff, v0
	s_waitcnt lgkmcnt(0)
	s_lshl_b32 s19, s15, 7
	s_mov_b32 s4, exec_lo
	s_delay_alu instid0(VALU_DEP_1) | instskip(NEXT) | instid1(VALU_DEP_1)
	v_or_b32_e32 v8, s19, v27
	v_cmpx_gt_i32_e64 s17, v8
	s_cbranch_execz .LBB10_31
; %bb.1:
	s_clause 0x1
	s_load_b256 s[4:11], s[2:3], 0x18
	s_load_b64 s[12:13], s[2:3], 0x38
	v_ashrrev_i32_e32 v9, 31, v8
	s_add_i32 s20, s16, -1
	s_cmp_lt_i32 s16, 2
	s_delay_alu instid0(VALU_DEP_1) | instskip(SKIP_1) | instid1(VALU_DEP_1)
	v_lshlrev_b64 v[1:2], 2, v[8:9]
	s_waitcnt lgkmcnt(0)
	v_add_co_u32 v9, vcc_lo, s10, v1
	s_delay_alu instid0(VALU_DEP_2)
	v_add_co_ci_u32_e32 v10, vcc_lo, s11, v2, vcc_lo
	v_mov_b32_e32 v1, 0
	global_store_b32 v[9:10], v1, off
	s_cbranch_scc1 .LBB10_28
; %bb.2:
	s_load_b64 s[0:1], s[0:1], 0x4
	v_bfe_u32 v1, v0, 10, 10
	s_load_b64 s[2:3], s[2:3], 0x10
	v_bfe_u32 v0, v0, 20, 10
	s_waitcnt lgkmcnt(0)
	s_delay_alu instid0(VALU_DEP_2) | instskip(SKIP_1) | instid1(SALU_CYCLE_1)
	v_mul_u32_u24_e32 v1, s1, v1
	s_lshr_b32 s0, s0, 16
	s_mul_i32 s0, s0, s1
	s_delay_alu instid0(VALU_DEP_1) | instid1(SALU_CYCLE_1)
	v_mad_u32_u24 v1, s0, v27, v1
	s_mov_b32 s0, 0
	s_delay_alu instid0(VALU_DEP_1) | instskip(NEXT) | instid1(VALU_DEP_1)
	v_add_lshl_u32 v28, v1, v0, 4
	v_add_nc_u32_e32 v29, 0x1800, v28
	v_add_nc_u32_e32 v30, 0x1000, v28
	v_add_nc_u32_e32 v31, 0x800, v28
	s_branch .LBB10_4
.LBB10_3:                               ;   in Loop: Header=BB10_4 Depth=1
	s_or_b32 exec_lo, exec_lo, s21
	s_cmp_eq_u32 s1, s20
	s_mov_b32 s0, s1
	s_cbranch_scc1 .LBB10_20
.LBB10_4:                               ; =>This Inner Loop Header: Depth=1
	v_mad_u64_u32 v[4:5], null, s0, s18, v[8:9]
	s_mov_b32 s1, exec_lo
	s_delay_alu instid0(VALU_DEP_1) | instskip(NEXT) | instid1(VALU_DEP_1)
	v_ashrrev_i32_e32 v5, 31, v4
	v_lshlrev_b64 v[15:16], 4, v[4:5]
	s_delay_alu instid0(VALU_DEP_1) | instskip(NEXT) | instid1(VALU_DEP_2)
	v_add_co_u32 v17, vcc_lo, s4, v15
	v_add_co_ci_u32_e32 v18, vcc_lo, s5, v16, vcc_lo
	global_load_b128 v[0:3], v[17:18], off
	s_waitcnt vmcnt(0)
	v_dual_mov_b32 v21, v0 :: v_dual_add_nc_u32 v4, s18, v4
	s_delay_alu instid0(VALU_DEP_1) | instskip(SKIP_3) | instid1(VALU_DEP_4)
	v_ashrrev_i32_e32 v5, 31, v4
	v_xor_b32_e32 v19, 0x80000000, v1
	v_xor_b32_e32 v20, 0x80000000, v3
	v_mov_b32_e32 v23, v2
	v_lshlrev_b64 v[13:14], 4, v[4:5]
	s_delay_alu instid0(VALU_DEP_1) | instskip(NEXT) | instid1(VALU_DEP_2)
	v_add_co_u32 v11, vcc_lo, s2, v13
	v_add_co_ci_u32_e32 v12, vcc_lo, s3, v14, vcc_lo
	v_cmp_gt_f64_e32 vcc_lo, 0, v[0:1]
	global_load_b128 v[4:7], v[11:12], off
	v_cndmask_b32_e32 v22, v1, v19, vcc_lo
	v_cmp_gt_f64_e32 vcc_lo, 0, v[2:3]
	v_cndmask_b32_e32 v24, v3, v20, vcc_lo
                                        ; implicit-def: $vgpr19_vgpr20
	s_delay_alu instid0(VALU_DEP_1)
	v_cmpx_ngt_f64_e32 v[21:22], v[23:24]
	s_xor_b32 s1, exec_lo, s1
	s_cbranch_execz .LBB10_8
; %bb.5:                                ;   in Loop: Header=BB10_4 Depth=1
	v_mov_b32_e32 v19, 0
	v_mov_b32_e32 v20, 0
	s_mov_b32 s14, exec_lo
	v_cmpx_neq_f64_e32 0, v[2:3]
	s_cbranch_execz .LBB10_7
; %bb.6:                                ;   in Loop: Header=BB10_4 Depth=1
	v_div_scale_f64 v[19:20], null, v[23:24], v[23:24], v[21:22]
	v_div_scale_f64 v[34:35], vcc_lo, v[21:22], v[23:24], v[21:22]
	s_delay_alu instid0(VALU_DEP_2) | instskip(SKIP_2) | instid1(VALU_DEP_1)
	v_rcp_f64_e32 v[25:26], v[19:20]
	s_waitcnt_depctr 0xfff
	v_fma_f64 v[32:33], -v[19:20], v[25:26], 1.0
	v_fma_f64 v[25:26], v[25:26], v[32:33], v[25:26]
	s_delay_alu instid0(VALU_DEP_1) | instskip(NEXT) | instid1(VALU_DEP_1)
	v_fma_f64 v[32:33], -v[19:20], v[25:26], 1.0
	v_fma_f64 v[25:26], v[25:26], v[32:33], v[25:26]
	s_delay_alu instid0(VALU_DEP_1) | instskip(NEXT) | instid1(VALU_DEP_1)
	v_mul_f64 v[32:33], v[34:35], v[25:26]
	v_fma_f64 v[19:20], -v[19:20], v[32:33], v[34:35]
	s_delay_alu instid0(VALU_DEP_1) | instskip(NEXT) | instid1(VALU_DEP_1)
	v_div_fmas_f64 v[19:20], v[19:20], v[25:26], v[32:33]
	v_div_fixup_f64 v[19:20], v[19:20], v[23:24], v[21:22]
	s_delay_alu instid0(VALU_DEP_1) | instskip(NEXT) | instid1(VALU_DEP_1)
	v_fma_f64 v[19:20], v[19:20], v[19:20], 1.0
	v_cmp_gt_f64_e32 vcc_lo, 0x10000000, v[19:20]
	v_cndmask_b32_e64 v21, 0, 1, vcc_lo
	s_delay_alu instid0(VALU_DEP_1) | instskip(NEXT) | instid1(VALU_DEP_1)
	v_lshlrev_b32_e32 v21, 8, v21
	v_ldexp_f64 v[19:20], v[19:20], v21
	s_delay_alu instid0(VALU_DEP_1) | instskip(SKIP_3) | instid1(VALU_DEP_1)
	v_rsq_f64_e32 v[21:22], v[19:20]
	s_waitcnt_depctr 0xfff
	v_mul_f64 v[25:26], v[19:20], v[21:22]
	v_mul_f64 v[21:22], v[21:22], 0.5
	v_fma_f64 v[32:33], -v[21:22], v[25:26], 0.5
	s_delay_alu instid0(VALU_DEP_1) | instskip(SKIP_1) | instid1(VALU_DEP_2)
	v_fma_f64 v[25:26], v[25:26], v[32:33], v[25:26]
	v_fma_f64 v[21:22], v[21:22], v[32:33], v[21:22]
	v_fma_f64 v[32:33], -v[25:26], v[25:26], v[19:20]
	s_delay_alu instid0(VALU_DEP_1) | instskip(NEXT) | instid1(VALU_DEP_1)
	v_fma_f64 v[25:26], v[32:33], v[21:22], v[25:26]
	v_fma_f64 v[32:33], -v[25:26], v[25:26], v[19:20]
	s_delay_alu instid0(VALU_DEP_1) | instskip(SKIP_2) | instid1(VALU_DEP_2)
	v_fma_f64 v[21:22], v[32:33], v[21:22], v[25:26]
	v_cndmask_b32_e64 v25, 0, 0xffffff80, vcc_lo
	v_cmp_class_f64_e64 vcc_lo, v[19:20], 0x260
	v_ldexp_f64 v[21:22], v[21:22], v25
	s_delay_alu instid0(VALU_DEP_1) | instskip(NEXT) | instid1(VALU_DEP_1)
	v_dual_cndmask_b32 v20, v22, v20 :: v_dual_cndmask_b32 v19, v21, v19
	v_mul_f64 v[19:20], v[23:24], v[19:20]
.LBB10_7:                               ;   in Loop: Header=BB10_4 Depth=1
	s_or_b32 exec_lo, exec_lo, s14
                                        ; implicit-def: $vgpr21_vgpr22
                                        ; implicit-def: $vgpr23_vgpr24
.LBB10_8:                               ;   in Loop: Header=BB10_4 Depth=1
	s_and_not1_saveexec_b32 s1, s1
	s_cbranch_execz .LBB10_10
; %bb.9:                                ;   in Loop: Header=BB10_4 Depth=1
	v_div_scale_f64 v[19:20], null, v[21:22], v[21:22], v[23:24]
	v_div_scale_f64 v[34:35], vcc_lo, v[23:24], v[21:22], v[23:24]
	s_delay_alu instid0(VALU_DEP_2) | instskip(SKIP_2) | instid1(VALU_DEP_1)
	v_rcp_f64_e32 v[25:26], v[19:20]
	s_waitcnt_depctr 0xfff
	v_fma_f64 v[32:33], -v[19:20], v[25:26], 1.0
	v_fma_f64 v[25:26], v[25:26], v[32:33], v[25:26]
	s_delay_alu instid0(VALU_DEP_1) | instskip(NEXT) | instid1(VALU_DEP_1)
	v_fma_f64 v[32:33], -v[19:20], v[25:26], 1.0
	v_fma_f64 v[25:26], v[25:26], v[32:33], v[25:26]
	s_delay_alu instid0(VALU_DEP_1) | instskip(NEXT) | instid1(VALU_DEP_1)
	v_mul_f64 v[32:33], v[34:35], v[25:26]
	v_fma_f64 v[19:20], -v[19:20], v[32:33], v[34:35]
	s_delay_alu instid0(VALU_DEP_1) | instskip(NEXT) | instid1(VALU_DEP_1)
	v_div_fmas_f64 v[19:20], v[19:20], v[25:26], v[32:33]
	v_div_fixup_f64 v[19:20], v[19:20], v[21:22], v[23:24]
	s_delay_alu instid0(VALU_DEP_1) | instskip(NEXT) | instid1(VALU_DEP_1)
	v_fma_f64 v[19:20], v[19:20], v[19:20], 1.0
	v_cmp_gt_f64_e32 vcc_lo, 0x10000000, v[19:20]
	v_cndmask_b32_e64 v23, 0, 1, vcc_lo
	s_delay_alu instid0(VALU_DEP_1) | instskip(NEXT) | instid1(VALU_DEP_1)
	v_lshlrev_b32_e32 v23, 8, v23
	v_ldexp_f64 v[19:20], v[19:20], v23
	s_delay_alu instid0(VALU_DEP_1) | instskip(SKIP_3) | instid1(VALU_DEP_1)
	v_rsq_f64_e32 v[23:24], v[19:20]
	s_waitcnt_depctr 0xfff
	v_mul_f64 v[25:26], v[19:20], v[23:24]
	v_mul_f64 v[23:24], v[23:24], 0.5
	v_fma_f64 v[32:33], -v[23:24], v[25:26], 0.5
	s_delay_alu instid0(VALU_DEP_1) | instskip(SKIP_1) | instid1(VALU_DEP_2)
	v_fma_f64 v[25:26], v[25:26], v[32:33], v[25:26]
	v_fma_f64 v[23:24], v[23:24], v[32:33], v[23:24]
	v_fma_f64 v[32:33], -v[25:26], v[25:26], v[19:20]
	s_delay_alu instid0(VALU_DEP_1) | instskip(NEXT) | instid1(VALU_DEP_1)
	v_fma_f64 v[25:26], v[32:33], v[23:24], v[25:26]
	v_fma_f64 v[32:33], -v[25:26], v[25:26], v[19:20]
	s_delay_alu instid0(VALU_DEP_1) | instskip(SKIP_2) | instid1(VALU_DEP_2)
	v_fma_f64 v[23:24], v[32:33], v[23:24], v[25:26]
	v_cndmask_b32_e64 v25, 0, 0xffffff80, vcc_lo
	v_cmp_class_f64_e64 vcc_lo, v[19:20], 0x260
	v_ldexp_f64 v[23:24], v[23:24], v25
	s_delay_alu instid0(VALU_DEP_1) | instskip(NEXT) | instid1(VALU_DEP_1)
	v_dual_cndmask_b32 v20, v24, v20 :: v_dual_cndmask_b32 v19, v23, v19
	v_mul_f64 v[19:20], v[21:22], v[19:20]
.LBB10_10:                              ;   in Loop: Header=BB10_4 Depth=1
	s_or_b32 exec_lo, exec_lo, s1
	s_waitcnt vmcnt(0)
	v_cmp_gt_f64_e32 vcc_lo, 0, v[4:5]
	v_xor_b32_e32 v22, 0x80000000, v5
	v_mov_b32_e32 v21, v4
	v_xor_b32_e32 v23, 0x80000000, v7
	s_mov_b32 s1, exec_lo
                                        ; implicit-def: $vgpr25_vgpr26
	s_delay_alu instid0(VALU_DEP_3) | instskip(SKIP_1) | instid1(VALU_DEP_3)
	v_cndmask_b32_e32 v22, v5, v22, vcc_lo
	v_cmp_gt_f64_e32 vcc_lo, 0, v[6:7]
	v_dual_cndmask_b32 v24, v7, v23 :: v_dual_mov_b32 v23, v6
	s_delay_alu instid0(VALU_DEP_1)
	v_cmpx_ngt_f64_e32 v[21:22], v[23:24]
	s_xor_b32 s1, exec_lo, s1
	s_cbranch_execz .LBB10_14
; %bb.11:                               ;   in Loop: Header=BB10_4 Depth=1
	v_mov_b32_e32 v25, 0
	v_mov_b32_e32 v26, 0
	s_mov_b32 s14, exec_lo
	v_cmpx_neq_f64_e32 0, v[6:7]
	s_cbranch_execz .LBB10_13
; %bb.12:                               ;   in Loop: Header=BB10_4 Depth=1
	v_div_scale_f64 v[25:26], null, v[23:24], v[23:24], v[21:22]
	v_div_scale_f64 v[36:37], vcc_lo, v[21:22], v[23:24], v[21:22]
	s_delay_alu instid0(VALU_DEP_2) | instskip(SKIP_2) | instid1(VALU_DEP_1)
	v_rcp_f64_e32 v[32:33], v[25:26]
	s_waitcnt_depctr 0xfff
	v_fma_f64 v[34:35], -v[25:26], v[32:33], 1.0
	v_fma_f64 v[32:33], v[32:33], v[34:35], v[32:33]
	s_delay_alu instid0(VALU_DEP_1) | instskip(NEXT) | instid1(VALU_DEP_1)
	v_fma_f64 v[34:35], -v[25:26], v[32:33], 1.0
	v_fma_f64 v[32:33], v[32:33], v[34:35], v[32:33]
	s_delay_alu instid0(VALU_DEP_1) | instskip(NEXT) | instid1(VALU_DEP_1)
	v_mul_f64 v[34:35], v[36:37], v[32:33]
	v_fma_f64 v[25:26], -v[25:26], v[34:35], v[36:37]
	s_delay_alu instid0(VALU_DEP_1) | instskip(NEXT) | instid1(VALU_DEP_1)
	v_div_fmas_f64 v[25:26], v[25:26], v[32:33], v[34:35]
	v_div_fixup_f64 v[21:22], v[25:26], v[23:24], v[21:22]
	s_delay_alu instid0(VALU_DEP_1) | instskip(NEXT) | instid1(VALU_DEP_1)
	v_fma_f64 v[21:22], v[21:22], v[21:22], 1.0
	v_cmp_gt_f64_e32 vcc_lo, 0x10000000, v[21:22]
	v_cndmask_b32_e64 v25, 0, 1, vcc_lo
	s_delay_alu instid0(VALU_DEP_1) | instskip(NEXT) | instid1(VALU_DEP_1)
	v_lshlrev_b32_e32 v25, 8, v25
	v_ldexp_f64 v[21:22], v[21:22], v25
	s_delay_alu instid0(VALU_DEP_1) | instskip(SKIP_3) | instid1(VALU_DEP_1)
	v_rsq_f64_e32 v[25:26], v[21:22]
	s_waitcnt_depctr 0xfff
	v_mul_f64 v[32:33], v[21:22], v[25:26]
	v_mul_f64 v[25:26], v[25:26], 0.5
	v_fma_f64 v[34:35], -v[25:26], v[32:33], 0.5
	s_delay_alu instid0(VALU_DEP_1) | instskip(SKIP_1) | instid1(VALU_DEP_2)
	v_fma_f64 v[32:33], v[32:33], v[34:35], v[32:33]
	v_fma_f64 v[25:26], v[25:26], v[34:35], v[25:26]
	v_fma_f64 v[34:35], -v[32:33], v[32:33], v[21:22]
	s_delay_alu instid0(VALU_DEP_1) | instskip(NEXT) | instid1(VALU_DEP_1)
	v_fma_f64 v[32:33], v[34:35], v[25:26], v[32:33]
	v_fma_f64 v[34:35], -v[32:33], v[32:33], v[21:22]
	s_delay_alu instid0(VALU_DEP_1) | instskip(SKIP_2) | instid1(VALU_DEP_2)
	v_fma_f64 v[25:26], v[34:35], v[25:26], v[32:33]
	v_cndmask_b32_e64 v32, 0, 0xffffff80, vcc_lo
	v_cmp_class_f64_e64 vcc_lo, v[21:22], 0x260
	v_ldexp_f64 v[25:26], v[25:26], v32
	s_delay_alu instid0(VALU_DEP_1) | instskip(NEXT) | instid1(VALU_DEP_1)
	v_dual_cndmask_b32 v22, v26, v22 :: v_dual_cndmask_b32 v21, v25, v21
	v_mul_f64 v[25:26], v[23:24], v[21:22]
.LBB10_13:                              ;   in Loop: Header=BB10_4 Depth=1
	s_or_b32 exec_lo, exec_lo, s14
                                        ; implicit-def: $vgpr21_vgpr22
                                        ; implicit-def: $vgpr23_vgpr24
.LBB10_14:                              ;   in Loop: Header=BB10_4 Depth=1
	s_and_not1_saveexec_b32 s1, s1
	s_cbranch_execz .LBB10_16
; %bb.15:                               ;   in Loop: Header=BB10_4 Depth=1
	v_div_scale_f64 v[25:26], null, v[21:22], v[21:22], v[23:24]
	v_div_scale_f64 v[36:37], vcc_lo, v[23:24], v[21:22], v[23:24]
	s_delay_alu instid0(VALU_DEP_2) | instskip(SKIP_2) | instid1(VALU_DEP_1)
	v_rcp_f64_e32 v[32:33], v[25:26]
	s_waitcnt_depctr 0xfff
	v_fma_f64 v[34:35], -v[25:26], v[32:33], 1.0
	v_fma_f64 v[32:33], v[32:33], v[34:35], v[32:33]
	s_delay_alu instid0(VALU_DEP_1) | instskip(NEXT) | instid1(VALU_DEP_1)
	v_fma_f64 v[34:35], -v[25:26], v[32:33], 1.0
	v_fma_f64 v[32:33], v[32:33], v[34:35], v[32:33]
	s_delay_alu instid0(VALU_DEP_1) | instskip(NEXT) | instid1(VALU_DEP_1)
	v_mul_f64 v[34:35], v[36:37], v[32:33]
	v_fma_f64 v[25:26], -v[25:26], v[34:35], v[36:37]
	s_delay_alu instid0(VALU_DEP_1) | instskip(NEXT) | instid1(VALU_DEP_1)
	v_div_fmas_f64 v[25:26], v[25:26], v[32:33], v[34:35]
	v_div_fixup_f64 v[23:24], v[25:26], v[21:22], v[23:24]
	s_delay_alu instid0(VALU_DEP_1) | instskip(NEXT) | instid1(VALU_DEP_1)
	v_fma_f64 v[23:24], v[23:24], v[23:24], 1.0
	v_cmp_gt_f64_e32 vcc_lo, 0x10000000, v[23:24]
	v_cndmask_b32_e64 v25, 0, 1, vcc_lo
	s_delay_alu instid0(VALU_DEP_1) | instskip(NEXT) | instid1(VALU_DEP_1)
	v_lshlrev_b32_e32 v25, 8, v25
	v_ldexp_f64 v[23:24], v[23:24], v25
	s_delay_alu instid0(VALU_DEP_1) | instskip(SKIP_3) | instid1(VALU_DEP_1)
	v_rsq_f64_e32 v[25:26], v[23:24]
	s_waitcnt_depctr 0xfff
	v_mul_f64 v[32:33], v[23:24], v[25:26]
	v_mul_f64 v[25:26], v[25:26], 0.5
	v_fma_f64 v[34:35], -v[25:26], v[32:33], 0.5
	s_delay_alu instid0(VALU_DEP_1) | instskip(SKIP_1) | instid1(VALU_DEP_2)
	v_fma_f64 v[32:33], v[32:33], v[34:35], v[32:33]
	v_fma_f64 v[25:26], v[25:26], v[34:35], v[25:26]
	v_fma_f64 v[34:35], -v[32:33], v[32:33], v[23:24]
	s_delay_alu instid0(VALU_DEP_1) | instskip(NEXT) | instid1(VALU_DEP_1)
	v_fma_f64 v[32:33], v[34:35], v[25:26], v[32:33]
	v_fma_f64 v[34:35], -v[32:33], v[32:33], v[23:24]
	s_delay_alu instid0(VALU_DEP_1) | instskip(SKIP_2) | instid1(VALU_DEP_2)
	v_fma_f64 v[25:26], v[34:35], v[25:26], v[32:33]
	v_cndmask_b32_e64 v32, 0, 0xffffff80, vcc_lo
	v_cmp_class_f64_e64 vcc_lo, v[23:24], 0x260
	v_ldexp_f64 v[25:26], v[25:26], v32
	s_delay_alu instid0(VALU_DEP_1) | instskip(NEXT) | instid1(VALU_DEP_1)
	v_dual_cndmask_b32 v24, v26, v24 :: v_dual_cndmask_b32 v23, v25, v23
	v_mul_f64 v[25:26], v[21:22], v[23:24]
.LBB10_16:                              ;   in Loop: Header=BB10_4 Depth=1
	s_or_b32 exec_lo, exec_lo, s1
	s_delay_alu instid0(VALU_DEP_1) | instskip(SKIP_3) | instid1(SALU_CYCLE_1)
	v_cmp_nlt_f64_e32 vcc_lo, v[19:20], v[25:26]
	v_mul_f64 v[19:20], v[6:7], v[2:3]
	s_add_i32 s1, s0, 1
	s_and_saveexec_b32 s14, vcc_lo
	s_xor_b32 s14, exec_lo, s14
	s_cbranch_execnz .LBB10_18
; %bb.17:                               ;   in Loop: Header=BB10_4 Depth=1
	s_and_not1_saveexec_b32 s21, s14
	s_cbranch_execz .LBB10_3
	s_branch .LBB10_19
.LBB10_18:                              ;   in Loop: Header=BB10_4 Depth=1
	v_mul_f64 v[17:18], v[2:3], v[2:3]
	v_add_co_u32 v15, vcc_lo, s6, v15
	v_add_co_ci_u32_e32 v16, vcc_lo, s7, v16, vcc_lo
	v_mul_f64 v[2:3], v[2:3], -v[4:5]
	s_mul_i32 s22, s1, s17
	s_delay_alu instid0(SALU_CYCLE_1) | instskip(NEXT) | instid1(SALU_CYCLE_1)
	s_ashr_i32 s23, s22, 31
	s_lshl_b64 s[22:23], s[22:23], 2
	s_delay_alu instid0(VALU_DEP_4) | instskip(SKIP_1) | instid1(VALU_DEP_3)
	v_fma_f64 v[25:26], v[0:1], v[0:1], v[17:18]
	v_mad_u64_u32 v[17:18], null, s0, s17, v[8:9]
	v_fma_f64 v[2:3], v[6:7], v[0:1], v[2:3]
	v_fma_f64 v[0:1], v[4:5], v[0:1], v[19:20]
	v_mov_b32_e32 v19, s1
	s_delay_alu instid0(VALU_DEP_4) | instskip(NEXT) | instid1(VALU_DEP_1)
	v_ashrrev_i32_e32 v18, 31, v17
	v_lshlrev_b64 v[17:18], 4, v[17:18]
	s_delay_alu instid0(VALU_DEP_1) | instskip(NEXT) | instid1(VALU_DEP_2)
	v_add_co_u32 v21, vcc_lo, s8, v17
	v_add_co_ci_u32_e32 v22, vcc_lo, s9, v18, vcc_lo
	v_add_co_u32 v46, vcc_lo, s4, v13
	global_load_b128 v[15:18], v[15:16], off
	global_load_b128 v[21:24], v[21:22], off
	v_add_co_ci_u32_e32 v47, vcc_lo, s5, v14, vcc_lo
	v_add_co_u32 v48, vcc_lo, s6, v13
	v_add_co_ci_u32_e32 v49, vcc_lo, s7, v14, vcc_lo
	v_div_scale_f64 v[40:41], null, v[25:26], v[25:26], 1.0
	v_div_scale_f64 v[13:14], vcc_lo, 1.0, v[25:26], 1.0
	s_delay_alu instid0(VALU_DEP_2) | instskip(SKIP_2) | instid1(VALU_DEP_1)
	v_rcp_f64_e32 v[32:33], v[40:41]
	s_waitcnt_depctr 0xfff
	v_fma_f64 v[34:35], -v[40:41], v[32:33], 1.0
	v_fma_f64 v[42:43], v[32:33], v[34:35], v[32:33]
	global_load_b128 v[32:35], v[46:47], off
	global_load_b128 v[36:39], v[48:49], off
	v_fma_f64 v[44:45], -v[40:41], v[42:43], 1.0
	s_delay_alu instid0(VALU_DEP_1) | instskip(NEXT) | instid1(VALU_DEP_1)
	v_fma_f64 v[42:43], v[42:43], v[44:45], v[42:43]
	v_mul_f64 v[44:45], v[13:14], v[42:43]
	s_delay_alu instid0(VALU_DEP_1) | instskip(NEXT) | instid1(VALU_DEP_1)
	v_fma_f64 v[13:14], -v[40:41], v[44:45], v[13:14]
	v_div_fmas_f64 v[13:14], v[13:14], v[42:43], v[44:45]
	s_delay_alu instid0(VALU_DEP_1) | instskip(NEXT) | instid1(VALU_DEP_1)
	v_div_fixup_f64 v[6:7], v[13:14], v[25:26], 1.0
	v_mul_f64 v[2:3], v[2:3], v[6:7]
	v_mul_f64 v[0:1], v[0:1], v[6:7]
	s_waitcnt vmcnt(3)
	s_delay_alu instid0(VALU_DEP_2) | instskip(NEXT) | instid1(VALU_DEP_2)
	v_mul_f64 v[4:5], v[17:18], -v[2:3]
	v_mul_f64 v[6:7], v[0:1], v[17:18]
	s_waitcnt vmcnt(2)
	v_mul_f64 v[13:14], v[23:24], -v[2:3]
	v_mul_f64 v[17:18], v[0:1], v[23:24]
	s_delay_alu instid0(VALU_DEP_4) | instskip(NEXT) | instid1(VALU_DEP_4)
	v_fma_f64 v[4:5], v[0:1], v[15:16], v[4:5]
	v_fma_f64 v[6:7], v[2:3], v[15:16], v[6:7]
	s_delay_alu instid0(VALU_DEP_4) | instskip(NEXT) | instid1(VALU_DEP_4)
	v_fma_f64 v[13:14], v[0:1], v[21:22], v[13:14]
	v_fma_f64 v[15:16], v[2:3], v[21:22], v[17:18]
	v_add_co_u32 v17, vcc_lo, v9, s22
	v_add_co_ci_u32_e32 v18, vcc_lo, s23, v10, vcc_lo
	s_waitcnt vmcnt(1)
	v_add_f64 v[4:5], v[32:33], -v[4:5]
	v_add_f64 v[6:7], v[34:35], -v[6:7]
	s_waitcnt vmcnt(0)
	v_add_f64 v[13:14], v[36:37], -v[13:14]
	v_add_f64 v[15:16], v[38:39], -v[15:16]
	global_store_b32 v[17:18], v19, off
	global_store_b128 v[11:12], v[0:3], off
	global_store_b128 v[46:47], v[4:7], off
	;; [unrolled: 1-line block ×3, first 2 shown]
                                        ; implicit-def: $vgpr11_vgpr12
                                        ; implicit-def: $vgpr17_vgpr18
                                        ; implicit-def: $vgpr13_vgpr14
                                        ; implicit-def: $vgpr15_vgpr16
                                        ; implicit-def: $vgpr6_vgpr7
                                        ; implicit-def: $vgpr2_vgpr3
                                        ; implicit-def: $vgpr19_vgpr20
	s_and_not1_saveexec_b32 s21, s14
	s_cbranch_execz .LBB10_3
.LBB10_19:                              ;   in Loop: Header=BB10_4 Depth=1
	s_mul_i32 s14, s0, s17
	v_add_co_u32 v64, vcc_lo, s4, v13
	v_add_nc_u32_e32 v25, s14, v8
	v_add_co_ci_u32_e32 v65, vcc_lo, s5, v14, vcc_lo
	v_add_co_u32 v66, vcc_lo, s6, v13
	s_delay_alu instid0(VALU_DEP_3) | instskip(SKIP_3) | instid1(VALU_DEP_4)
	v_ashrrev_i32_e32 v26, 31, v25
	v_add_co_ci_u32_e32 v67, vcc_lo, s7, v14, vcc_lo
	v_mul_f64 v[46:47], v[6:7], v[6:7]
	v_add_co_u32 v74, s0, s12, v15
	v_lshlrev_b64 v[21:22], 4, v[25:26]
	v_add_co_ci_u32_e64 v75, s0, s13, v16, s0
	s_ashr_i32 s15, s14, 31
	v_add_co_u32 v76, s0, s12, v13
	s_delay_alu instid0(VALU_DEP_3) | instskip(NEXT) | instid1(VALU_DEP_4)
	v_add_co_u32 v44, vcc_lo, s8, v21
	v_add_co_ci_u32_e32 v45, vcc_lo, s9, v22, vcc_lo
	global_load_b128 v[21:24], v[64:65], off
	global_load_b128 v[32:35], v[66:67], off
	;; [unrolled: 1-line block ×3, first 2 shown]
	v_add_co_u32 v48, vcc_lo, s6, v15
	v_add_co_ci_u32_e32 v49, vcc_lo, s7, v16, vcc_lo
	s_lshl_b64 s[14:15], s[14:15], 2
	v_add_co_ci_u32_e64 v77, s0, s13, v14, s0
	global_load_b128 v[40:43], v[48:49], off
	v_add_co_u32 v78, s0, v9, s14
	s_delay_alu instid0(VALU_DEP_1)
	v_add_co_ci_u32_e64 v79, s0, s15, v10, s0
	s_waitcnt vmcnt(3)
	global_store_b128 v[48:49], v[21:24], off
	s_waitcnt vmcnt(2)
	global_store_b128 v[44:45], v[32:35], off
	v_fma_f64 v[68:69], v[4:5], v[4:5], v[46:47]
	s_waitcnt vmcnt(1)
	global_store_b128 v[66:67], v[36:39], off
	global_load_b128 v[48:51], v[48:49], off
	global_load_b128 v[44:47], v[44:45], off
	global_store_b128 v[17:18], v[4:7], off
	s_waitcnt vmcnt(2)
	global_store_b128 v[64:65], v[40:43], off
	v_mul_f64 v[6:7], v[6:7], -v[0:1]
	v_fma_f64 v[0:1], v[0:1], v[4:5], v[19:20]
	v_div_scale_f64 v[70:71], null, v[68:69], v[68:69], 1.0
	v_div_scale_f64 v[17:18], vcc_lo, 1.0, v[68:69], 1.0
	s_delay_alu instid0(VALU_DEP_4) | instskip(NEXT) | instid1(VALU_DEP_3)
	v_fma_f64 v[2:3], v[2:3], v[4:5], v[6:7]
	v_rcp_f64_e32 v[52:53], v[70:71]
	s_waitcnt_depctr 0xfff
	v_fma_f64 v[54:55], -v[70:71], v[52:53], 1.0
	s_delay_alu instid0(VALU_DEP_1) | instskip(SKIP_3) | instid1(VALU_DEP_1)
	v_fma_f64 v[60:61], v[52:53], v[54:55], v[52:53]
	global_load_b128 v[52:55], v[66:67], off
	global_load_b128 v[56:59], v[64:65], off
	v_fma_f64 v[62:63], -v[70:71], v[60:61], 1.0
	v_fma_f64 v[72:73], v[60:61], v[62:63], v[60:61]
	s_clause 0x1
	global_load_b128 v[13:16], v[76:77], off
	global_load_b128 v[60:63], v[74:75], off
	global_load_b32 v82, v[78:79], off
	v_mul_f64 v[80:81], v[17:18], v[72:73]
	s_delay_alu instid0(VALU_DEP_1) | instskip(NEXT) | instid1(VALU_DEP_1)
	v_fma_f64 v[17:18], -v[70:71], v[80:81], v[17:18]
	v_div_fmas_f64 v[17:18], v[17:18], v[72:73], v[80:81]
	s_delay_alu instid0(VALU_DEP_1) | instskip(NEXT) | instid1(VALU_DEP_1)
	v_div_fixup_f64 v[6:7], v[17:18], v[68:69], 1.0
	v_mul_f64 v[2:3], v[6:7], v[2:3]
	v_mul_f64 v[0:1], v[6:7], v[0:1]
	s_waitcnt vmcnt(6)
	s_delay_alu instid0(VALU_DEP_2) | instskip(NEXT) | instid1(VALU_DEP_2)
	v_mul_f64 v[6:7], v[50:51], -v[2:3]
	v_mul_f64 v[17:18], v[0:1], v[50:51]
	s_waitcnt vmcnt(5)
	v_mul_f64 v[4:5], v[46:47], -v[2:3]
	v_mul_f64 v[19:20], v[0:1], v[46:47]
	s_delay_alu instid0(VALU_DEP_4) | instskip(NEXT) | instid1(VALU_DEP_4)
	v_fma_f64 v[6:7], v[0:1], v[48:49], v[6:7]
	v_fma_f64 v[46:47], v[2:3], v[48:49], v[17:18]
	s_delay_alu instid0(VALU_DEP_4) | instskip(NEXT) | instid1(VALU_DEP_4)
	v_fma_f64 v[4:5], v[0:1], v[44:45], v[4:5]
	v_fma_f64 v[44:45], v[2:3], v[44:45], v[19:20]
	s_waitcnt vmcnt(3)
	s_delay_alu instid0(VALU_DEP_4) | instskip(NEXT) | instid1(VALU_DEP_4)
	v_add_f64 v[17:18], v[56:57], -v[6:7]
	v_add_f64 v[19:20], v[58:59], -v[46:47]
	s_delay_alu instid0(VALU_DEP_4) | instskip(NEXT) | instid1(VALU_DEP_4)
	v_add_f64 v[4:5], v[52:53], -v[4:5]
	v_add_f64 v[6:7], v[54:55], -v[44:45]
	v_dual_mov_b32 v44, s1 :: v_dual_add_nc_u32 v25, s17, v25
	global_store_b32 v[78:79], v44, off
	v_ashrrev_i32_e32 v26, 31, v25
	ds_store_2addr_b64 v29, v[21:22], v[23:24] offset1:1
	ds_store_2addr_b64 v30, v[40:41], v[42:43] offset1:1
	;; [unrolled: 1-line block ×3, first 2 shown]
	v_lshlrev_b64 v[25:26], 2, v[25:26]
	s_delay_alu instid0(VALU_DEP_1) | instskip(NEXT) | instid1(VALU_DEP_2)
	v_add_co_u32 v25, vcc_lo, s10, v25
	v_add_co_ci_u32_e32 v26, vcc_lo, s11, v26, vcc_lo
	s_waitcnt vmcnt(2)
	global_store_b128 v[74:75], v[13:16], off
	s_waitcnt vmcnt(1)
	global_store_b128 v[76:77], v[60:63], off
	s_waitcnt vmcnt(0)
	global_store_b32 v[25:26], v82, off
	ds_store_2addr_b64 v28, v[36:37], v[38:39] offset1:1
	global_store_b128 v[11:12], v[0:3], off
	global_store_b128 v[64:65], v[17:20], off
	;; [unrolled: 1-line block ×3, first 2 shown]
	s_branch .LBB10_3
.LBB10_20:
	v_mov_b32_e32 v4, 0
	s_mov_b32 s0, 1
	s_branch .LBB10_23
.LBB10_21:                              ;   in Loop: Header=BB10_23 Depth=1
	s_or_b32 exec_lo, exec_lo, s10
	v_mad_u64_u32 v[4:5], null, s0, s18, v[8:9]
	s_delay_alu instid0(VALU_DEP_1) | instskip(NEXT) | instid1(VALU_DEP_1)
	v_ashrrev_i32_e32 v5, 31, v4
	v_lshlrev_b64 v[4:5], 4, v[4:5]
	s_delay_alu instid0(VALU_DEP_1) | instskip(NEXT) | instid1(VALU_DEP_2)
	v_add_co_u32 v15, vcc_lo, s12, v4
	v_add_co_ci_u32_e32 v16, vcc_lo, s13, v5, vcc_lo
	global_load_b128 v[4:7], v[15:16], off
	s_waitcnt vmcnt(0)
	v_add_f64 v[11:12], v[2:3], v[4:5]
	v_add_f64 v[13:14], v[0:1], v[6:7]
	v_mov_b32_e32 v4, s0
	global_store_b128 v[15:16], v[11:14], off
.LBB10_22:                              ;   in Loop: Header=BB10_23 Depth=1
	s_or_b32 exec_lo, exec_lo, s1
	s_add_i32 s0, s0, 1
	s_delay_alu instid0(SALU_CYCLE_1)
	s_cmp_eq_u32 s0, s16
	s_cbranch_scc1 .LBB10_28
.LBB10_23:                              ; =>This Loop Header: Depth=1
                                        ;     Child Loop BB10_26 Depth 2
	s_mul_i32 s10, s0, s17
	s_mov_b32 s1, exec_lo
	s_ashr_i32 s11, s10, 31
	s_delay_alu instid0(SALU_CYCLE_1) | instskip(NEXT) | instid1(SALU_CYCLE_1)
	s_lshl_b64 s[10:11], s[10:11], 2
	v_add_co_u32 v0, vcc_lo, v9, s10
	v_add_co_ci_u32_e32 v1, vcc_lo, s11, v10, vcc_lo
	global_load_b32 v0, v[0:1], off
	s_waitcnt vmcnt(0)
	v_cmpx_ge_i32_e64 s0, v0
	s_cbranch_execz .LBB10_22
; %bb.24:                               ;   in Loop: Header=BB10_23 Depth=1
	v_mov_b32_e32 v0, 0
	v_mov_b32_e32 v1, 0
	s_mov_b32 s10, exec_lo
	s_delay_alu instid0(VALU_DEP_1)
	v_dual_mov_b32 v3, v1 :: v_dual_mov_b32 v2, v0
	v_cmpx_gt_i32_e64 s0, v4
	s_cbranch_execz .LBB10_21
; %bb.25:                               ;   in Loop: Header=BB10_23 Depth=1
	v_mul_lo_u32 v5, s18, v4
	v_mov_b32_e32 v0, 0
	v_dual_mov_b32 v1, 0 :: v_dual_mov_b32 v6, v8
	s_mov_b32 s11, 0
	s_delay_alu instid0(VALU_DEP_1) | instskip(NEXT) | instid1(VALU_DEP_4)
	v_dual_mov_b32 v3, v1 :: v_dual_mov_b32 v2, v0
	v_add_nc_u32_e32 v7, s18, v5
	s_set_inst_prefetch_distance 0x1
	.p2align	6
.LBB10_26:                              ;   Parent Loop BB10_23 Depth=1
                                        ; =>  This Inner Loop Header: Depth=2
	v_add_nc_u32_e32 v11, v5, v6
	s_delay_alu instid0(VALU_DEP_2) | instskip(SKIP_2) | instid1(VALU_DEP_4)
	v_add_nc_u32_e32 v13, v7, v6
	v_add_nc_u32_e32 v4, 1, v4
	;; [unrolled: 1-line block ×3, first 2 shown]
	v_ashrrev_i32_e32 v12, 31, v11
	s_delay_alu instid0(VALU_DEP_4) | instskip(NEXT) | instid1(VALU_DEP_2)
	v_ashrrev_i32_e32 v14, 31, v13
	v_lshlrev_b64 v[11:12], 4, v[11:12]
	s_delay_alu instid0(VALU_DEP_2) | instskip(NEXT) | instid1(VALU_DEP_2)
	v_lshlrev_b64 v[13:14], 4, v[13:14]
	v_add_co_u32 v11, vcc_lo, s12, v11
	s_delay_alu instid0(VALU_DEP_3) | instskip(NEXT) | instid1(VALU_DEP_3)
	v_add_co_ci_u32_e32 v12, vcc_lo, s13, v12, vcc_lo
	v_add_co_u32 v15, vcc_lo, s2, v13
	s_delay_alu instid0(VALU_DEP_4)
	v_add_co_ci_u32_e32 v16, vcc_lo, s3, v14, vcc_lo
	v_cmp_le_i32_e32 vcc_lo, s0, v4
	global_load_b128 v[11:14], v[11:12], off
	global_load_b128 v[15:18], v[15:16], off
	s_or_b32 s11, vcc_lo, s11
	s_waitcnt vmcnt(0)
	v_mul_f64 v[19:20], v[13:14], -v[17:18]
	v_mul_f64 v[13:14], v[13:14], v[15:16]
	s_delay_alu instid0(VALU_DEP_2) | instskip(NEXT) | instid1(VALU_DEP_2)
	v_fma_f64 v[15:16], v[15:16], v[11:12], v[19:20]
	v_fma_f64 v[11:12], v[17:18], v[11:12], v[13:14]
	s_delay_alu instid0(VALU_DEP_2) | instskip(NEXT) | instid1(VALU_DEP_2)
	v_add_f64 v[2:3], v[2:3], -v[15:16]
	v_add_f64 v[0:1], v[0:1], -v[11:12]
	s_and_not1_b32 exec_lo, exec_lo, s11
	s_cbranch_execnz .LBB10_26
; %bb.27:                               ;   in Loop: Header=BB10_23 Depth=1
	s_set_inst_prefetch_distance 0x2
	s_or_b32 exec_lo, exec_lo, s11
	s_branch .LBB10_21
.LBB10_28:
	s_mul_i32 s20, s20, s18
	s_delay_alu instid0(SALU_CYCLE_1) | instskip(SKIP_3) | instid1(VALU_DEP_2)
	v_add_nc_u32_e32 v0, s20, v8
	s_sub_i32 s0, s20, s18
	s_cmp_lt_i32 s16, 3
	v_add_nc_u32_e32 v9, s0, v8
	v_ashrrev_i32_e32 v1, 31, v0
	s_delay_alu instid0(VALU_DEP_2) | instskip(NEXT) | instid1(VALU_DEP_2)
	v_ashrrev_i32_e32 v10, 31, v9
	v_lshlrev_b64 v[4:5], 4, v[0:1]
	s_delay_alu instid0(VALU_DEP_2) | instskip(NEXT) | instid1(VALU_DEP_2)
	v_lshlrev_b64 v[21:22], 4, v[9:10]
	v_add_co_u32 v0, vcc_lo, s4, v4
	s_delay_alu instid0(VALU_DEP_3)
	v_add_co_ci_u32_e32 v1, vcc_lo, s5, v5, vcc_lo
	v_add_co_u32 v15, vcc_lo, s12, v4
	v_add_co_ci_u32_e32 v16, vcc_lo, s13, v5, vcc_lo
	global_load_b128 v[0:3], v[0:1], off
	v_add_co_u32 v9, vcc_lo, s4, v21
	v_add_co_ci_u32_e32 v10, vcc_lo, s5, v22, vcc_lo
	global_load_b128 v[9:12], v[9:10], off
	s_waitcnt vmcnt(1)
	v_mul_f64 v[6:7], v[2:3], v[2:3]
	s_delay_alu instid0(VALU_DEP_1) | instskip(SKIP_3) | instid1(VALU_DEP_2)
	v_fma_f64 v[13:14], v[0:1], v[0:1], v[6:7]
	global_load_b128 v[4:7], v[15:16], off
	v_div_scale_f64 v[17:18], null, v[13:14], v[13:14], 1.0
	v_div_scale_f64 v[25:26], vcc_lo, 1.0, v[13:14], 1.0
	v_rcp_f64_e32 v[19:20], v[17:18]
	s_waitcnt_depctr 0xfff
	v_fma_f64 v[23:24], -v[17:18], v[19:20], 1.0
	s_delay_alu instid0(VALU_DEP_1) | instskip(NEXT) | instid1(VALU_DEP_1)
	v_fma_f64 v[19:20], v[19:20], v[23:24], v[19:20]
	v_fma_f64 v[23:24], -v[17:18], v[19:20], 1.0
	s_delay_alu instid0(VALU_DEP_1) | instskip(NEXT) | instid1(VALU_DEP_1)
	v_fma_f64 v[19:20], v[19:20], v[23:24], v[19:20]
	v_mul_f64 v[23:24], v[25:26], v[19:20]
	s_delay_alu instid0(VALU_DEP_1) | instskip(SKIP_3) | instid1(VALU_DEP_3)
	v_fma_f64 v[17:18], -v[17:18], v[23:24], v[25:26]
	s_waitcnt vmcnt(0)
	v_mul_f64 v[25:26], v[2:3], v[6:7]
	v_mul_f64 v[2:3], v[2:3], -v[4:5]
	v_div_fmas_f64 v[17:18], v[17:18], v[19:20], v[23:24]
	v_add_co_u32 v19, vcc_lo, s6, v21
	v_add_co_ci_u32_e32 v20, vcc_lo, s7, v22, vcc_lo
	v_fma_f64 v[4:5], v[4:5], v[0:1], v[25:26]
	v_fma_f64 v[6:7], v[6:7], v[0:1], v[2:3]
	global_load_b128 v[0:3], v[19:20], off
	v_add_co_u32 v19, vcc_lo, s12, v21
	v_add_co_ci_u32_e32 v20, vcc_lo, s13, v22, vcc_lo
	v_div_fixup_f64 v[13:14], v[17:18], v[13:14], 1.0
	v_mul_f64 v[17:18], v[11:12], v[11:12]
	s_delay_alu instid0(VALU_DEP_2) | instskip(SKIP_1) | instid1(VALU_DEP_3)
	v_mul_f64 v[4:5], v[13:14], v[4:5]
	v_mul_f64 v[6:7], v[13:14], v[6:7]
	v_fma_f64 v[17:18], v[9:10], v[9:10], v[17:18]
	global_store_b128 v[15:16], v[4:7], off
	global_load_b128 v[13:16], v[19:20], off
	v_div_scale_f64 v[21:22], null, v[17:18], v[17:18], 1.0
	v_div_scale_f64 v[28:29], vcc_lo, 1.0, v[17:18], 1.0
	s_delay_alu instid0(VALU_DEP_2) | instskip(SKIP_2) | instid1(VALU_DEP_1)
	v_rcp_f64_e32 v[23:24], v[21:22]
	s_waitcnt_depctr 0xfff
	v_fma_f64 v[25:26], -v[21:22], v[23:24], 1.0
	v_fma_f64 v[23:24], v[23:24], v[25:26], v[23:24]
	s_delay_alu instid0(VALU_DEP_1) | instskip(NEXT) | instid1(VALU_DEP_1)
	v_fma_f64 v[25:26], -v[21:22], v[23:24], 1.0
	v_fma_f64 v[23:24], v[23:24], v[25:26], v[23:24]
	s_waitcnt vmcnt(1)
	v_mul_f64 v[25:26], v[6:7], v[0:1]
	v_mul_f64 v[6:7], v[6:7], -v[2:3]
	s_delay_alu instid0(VALU_DEP_3) | instskip(NEXT) | instid1(VALU_DEP_3)
	v_mul_f64 v[30:31], v[28:29], v[23:24]
	v_fma_f64 v[2:3], v[2:3], v[4:5], v[25:26]
	s_delay_alu instid0(VALU_DEP_3) | instskip(NEXT) | instid1(VALU_DEP_3)
	v_fma_f64 v[0:1], v[0:1], v[4:5], v[6:7]
	v_fma_f64 v[4:5], -v[21:22], v[30:31], v[28:29]
	s_delay_alu instid0(VALU_DEP_1) | instskip(SKIP_1) | instid1(VALU_DEP_4)
	v_div_fmas_f64 v[4:5], v[4:5], v[23:24], v[30:31]
	s_waitcnt vmcnt(0)
	v_add_f64 v[2:3], v[15:16], -v[2:3]
	s_delay_alu instid0(VALU_DEP_4) | instskip(NEXT) | instid1(VALU_DEP_3)
	v_add_f64 v[0:1], v[13:14], -v[0:1]
	v_div_fixup_f64 v[4:5], v[4:5], v[17:18], 1.0
	s_delay_alu instid0(VALU_DEP_3) | instskip(NEXT) | instid1(VALU_DEP_3)
	v_mul_f64 v[6:7], v[2:3], v[11:12]
	v_mul_f64 v[11:12], v[11:12], -v[0:1]
	s_delay_alu instid0(VALU_DEP_2) | instskip(NEXT) | instid1(VALU_DEP_2)
	v_fma_f64 v[0:1], v[0:1], v[9:10], v[6:7]
	v_fma_f64 v[2:3], v[2:3], v[9:10], v[11:12]
	s_delay_alu instid0(VALU_DEP_2) | instskip(NEXT) | instid1(VALU_DEP_2)
	v_mul_f64 v[0:1], v[0:1], v[4:5]
	v_mul_f64 v[2:3], v[2:3], v[4:5]
	global_store_b128 v[19:20], v[0:3], off
	s_cbranch_scc1 .LBB10_31
; %bb.29:
	s_add_i32 s2, s16, -3
	s_add_i32 s0, s16, -2
	s_mul_i32 s1, s17, s2
	s_mul_i32 s2, s18, s2
	v_add3_u32 v0, s19, s1, v27
	s_mul_i32 s1, s18, s0
.LBB10_30:                              ; =>This Inner Loop Header: Depth=1
	v_add_nc_u32_e32 v1, s2, v8
	v_add_nc_u32_e32 v9, s1, v8
	;; [unrolled: 1-line block ×3, first 2 shown]
	v_subrev_nc_u32_e32 v8, s18, v8
	s_add_i32 s0, s0, -1
	v_ashrrev_i32_e32 v2, 31, v1
	v_ashrrev_i32_e32 v10, 31, v9
	;; [unrolled: 1-line block ×3, first 2 shown]
	s_cmp_lg_u32 s0, 0
	s_delay_alu instid0(VALU_DEP_3) | instskip(NEXT) | instid1(VALU_DEP_3)
	v_lshlrev_b64 v[6:7], 4, v[1:2]
	v_lshlrev_b64 v[9:10], 4, v[9:10]
	s_delay_alu instid0(VALU_DEP_3) | instskip(NEXT) | instid1(VALU_DEP_3)
	v_lshlrev_b64 v[17:18], 4, v[17:18]
	v_add_co_u32 v1, vcc_lo, s4, v6
	s_delay_alu instid0(VALU_DEP_4) | instskip(NEXT) | instid1(VALU_DEP_4)
	v_add_co_ci_u32_e32 v2, vcc_lo, s5, v7, vcc_lo
	v_add_co_u32 v9, vcc_lo, s12, v9
	v_add_co_ci_u32_e32 v10, vcc_lo, s13, v10, vcc_lo
	global_load_b128 v[2:5], v[1:2], off
	v_add_co_u32 v13, vcc_lo, s6, v6
	v_add_co_ci_u32_e32 v14, vcc_lo, s7, v7, vcc_lo
	global_load_b128 v[9:12], v[9:10], off
	global_load_b128 v[13:16], v[13:14], off
	v_ashrrev_i32_e32 v1, 31, v0
	s_delay_alu instid0(VALU_DEP_1) | instskip(SKIP_1) | instid1(VALU_DEP_2)
	v_lshlrev_b64 v[19:20], 4, v[0:1]
	v_subrev_nc_u32_e32 v0, s17, v0
	v_add_co_u32 v19, vcc_lo, s8, v19
	s_delay_alu instid0(VALU_DEP_3)
	v_add_co_ci_u32_e32 v20, vcc_lo, s9, v20, vcc_lo
	v_add_co_u32 v21, vcc_lo, s12, v17
	v_add_co_ci_u32_e32 v22, vcc_lo, s13, v18, vcc_lo
	global_load_b128 v[17:20], v[19:20], off
	global_load_b128 v[21:24], v[21:22], off
	v_add_co_u32 v6, vcc_lo, s12, v6
	v_add_co_ci_u32_e32 v7, vcc_lo, s13, v7, vcc_lo
	global_load_b128 v[25:28], v[6:7], off
	s_waitcnt vmcnt(5)
	v_mul_f64 v[29:30], v[4:5], v[4:5]
	s_waitcnt vmcnt(1)
	v_mul_f64 v[39:40], v[23:24], -v[19:20]
	v_mul_f64 v[23:24], v[23:24], v[17:18]
	s_delay_alu instid0(VALU_DEP_3) | instskip(NEXT) | instid1(VALU_DEP_3)
	v_fma_f64 v[29:30], v[2:3], v[2:3], v[29:30]
	v_fma_f64 v[17:18], v[17:18], v[21:22], v[39:40]
	s_delay_alu instid0(VALU_DEP_3) | instskip(NEXT) | instid1(VALU_DEP_3)
	v_fma_f64 v[19:20], v[19:20], v[21:22], v[23:24]
	v_div_scale_f64 v[31:32], null, v[29:30], v[29:30], 1.0
	s_delay_alu instid0(VALU_DEP_1) | instskip(SKIP_2) | instid1(VALU_DEP_1)
	v_rcp_f64_e32 v[33:34], v[31:32]
	s_waitcnt_depctr 0xfff
	v_fma_f64 v[35:36], -v[31:32], v[33:34], 1.0
	v_fma_f64 v[33:34], v[33:34], v[35:36], v[33:34]
	v_mul_f64 v[35:36], v[11:12], v[13:14]
	v_mul_f64 v[11:12], v[11:12], -v[15:16]
	s_delay_alu instid0(VALU_DEP_3) | instskip(NEXT) | instid1(VALU_DEP_3)
	v_fma_f64 v[37:38], -v[31:32], v[33:34], 1.0
	v_fma_f64 v[15:16], v[15:16], v[9:10], v[35:36]
	s_delay_alu instid0(VALU_DEP_3) | instskip(SKIP_1) | instid1(VALU_DEP_4)
	v_fma_f64 v[9:10], v[13:14], v[9:10], v[11:12]
	v_div_scale_f64 v[11:12], vcc_lo, 1.0, v[29:30], 1.0
	v_fma_f64 v[13:14], v[33:34], v[37:38], v[33:34]
	s_waitcnt vmcnt(0)
	s_delay_alu instid0(VALU_DEP_4) | instskip(NEXT) | instid1(VALU_DEP_4)
	v_add_f64 v[15:16], v[27:28], -v[15:16]
	v_add_f64 v[9:10], v[25:26], -v[9:10]
	s_delay_alu instid0(VALU_DEP_3) | instskip(NEXT) | instid1(VALU_DEP_3)
	v_mul_f64 v[21:22], v[11:12], v[13:14]
	v_add_f64 v[15:16], v[15:16], -v[19:20]
	s_delay_alu instid0(VALU_DEP_3) | instskip(NEXT) | instid1(VALU_DEP_3)
	v_add_f64 v[9:10], v[9:10], -v[17:18]
	v_fma_f64 v[11:12], -v[31:32], v[21:22], v[11:12]
	s_delay_alu instid0(VALU_DEP_3) | instskip(NEXT) | instid1(VALU_DEP_3)
	v_mul_f64 v[17:18], v[15:16], v[4:5]
	v_mul_f64 v[4:5], v[4:5], -v[9:10]
	s_delay_alu instid0(VALU_DEP_3) | instskip(NEXT) | instid1(VALU_DEP_3)
	v_div_fmas_f64 v[11:12], v[11:12], v[13:14], v[21:22]
	v_fma_f64 v[9:10], v[9:10], v[2:3], v[17:18]
	s_delay_alu instid0(VALU_DEP_3) | instskip(NEXT) | instid1(VALU_DEP_3)
	v_fma_f64 v[3:4], v[15:16], v[2:3], v[4:5]
	v_div_fixup_f64 v[11:12], v[11:12], v[29:30], 1.0
	s_delay_alu instid0(VALU_DEP_1) | instskip(NEXT) | instid1(VALU_DEP_3)
	v_mul_f64 v[1:2], v[9:10], v[11:12]
	v_mul_f64 v[3:4], v[11:12], v[3:4]
	global_store_b128 v[6:7], v[1:4], off
	s_cbranch_scc1 .LBB10_30
.LBB10_31:
	s_nop 0
	s_sendmsg sendmsg(MSG_DEALLOC_VGPRS)
	s_endpgm
	.section	.rodata,"a",@progbits
	.p2align	6, 0x0
	.amdhsa_kernel _ZN9rocsparseL32gtsv_interleaved_batch_lu_kernelILj128E21rocsparse_complex_numIdEEEviiiPT0_S4_S4_S4_PiS4_
		.amdhsa_group_segment_fixed_size 8192
		.amdhsa_private_segment_fixed_size 24
		.amdhsa_kernarg_size 64
		.amdhsa_user_sgpr_count 15
		.amdhsa_user_sgpr_dispatch_ptr 1
		.amdhsa_user_sgpr_queue_ptr 0
		.amdhsa_user_sgpr_kernarg_segment_ptr 1
		.amdhsa_user_sgpr_dispatch_id 0
		.amdhsa_user_sgpr_private_segment_size 0
		.amdhsa_wavefront_size32 1
		.amdhsa_uses_dynamic_stack 0
		.amdhsa_enable_private_segment 1
		.amdhsa_system_sgpr_workgroup_id_x 1
		.amdhsa_system_sgpr_workgroup_id_y 0
		.amdhsa_system_sgpr_workgroup_id_z 0
		.amdhsa_system_sgpr_workgroup_info 0
		.amdhsa_system_vgpr_workitem_id 2
		.amdhsa_next_free_vgpr 83
		.amdhsa_next_free_sgpr 24
		.amdhsa_reserve_vcc 1
		.amdhsa_float_round_mode_32 0
		.amdhsa_float_round_mode_16_64 0
		.amdhsa_float_denorm_mode_32 3
		.amdhsa_float_denorm_mode_16_64 3
		.amdhsa_dx10_clamp 1
		.amdhsa_ieee_mode 1
		.amdhsa_fp16_overflow 0
		.amdhsa_workgroup_processor_mode 1
		.amdhsa_memory_ordered 1
		.amdhsa_forward_progress 0
		.amdhsa_shared_vgpr_count 0
		.amdhsa_exception_fp_ieee_invalid_op 0
		.amdhsa_exception_fp_denorm_src 0
		.amdhsa_exception_fp_ieee_div_zero 0
		.amdhsa_exception_fp_ieee_overflow 0
		.amdhsa_exception_fp_ieee_underflow 0
		.amdhsa_exception_fp_ieee_inexact 0
		.amdhsa_exception_int_div_zero 0
	.end_amdhsa_kernel
	.section	.text._ZN9rocsparseL32gtsv_interleaved_batch_lu_kernelILj128E21rocsparse_complex_numIdEEEviiiPT0_S4_S4_S4_PiS4_,"axG",@progbits,_ZN9rocsparseL32gtsv_interleaved_batch_lu_kernelILj128E21rocsparse_complex_numIdEEEviiiPT0_S4_S4_S4_PiS4_,comdat
.Lfunc_end10:
	.size	_ZN9rocsparseL32gtsv_interleaved_batch_lu_kernelILj128E21rocsparse_complex_numIdEEEviiiPT0_S4_S4_S4_PiS4_, .Lfunc_end10-_ZN9rocsparseL32gtsv_interleaved_batch_lu_kernelILj128E21rocsparse_complex_numIdEEEviiiPT0_S4_S4_S4_PiS4_
                                        ; -- End function
	.section	.AMDGPU.csdata,"",@progbits
; Kernel info:
; codeLenInByte = 4576
; NumSgprs: 26
; NumVgprs: 83
; ScratchSize: 24
; MemoryBound: 0
; FloatMode: 240
; IeeeMode: 1
; LDSByteSize: 8192 bytes/workgroup (compile time only)
; SGPRBlocks: 3
; VGPRBlocks: 10
; NumSGPRsForWavesPerEU: 26
; NumVGPRsForWavesPerEU: 83
; Occupancy: 16
; WaveLimiterHint : 0
; COMPUTE_PGM_RSRC2:SCRATCH_EN: 1
; COMPUTE_PGM_RSRC2:USER_SGPR: 15
; COMPUTE_PGM_RSRC2:TRAP_HANDLER: 0
; COMPUTE_PGM_RSRC2:TGID_X_EN: 1
; COMPUTE_PGM_RSRC2:TGID_Y_EN: 0
; COMPUTE_PGM_RSRC2:TGID_Z_EN: 0
; COMPUTE_PGM_RSRC2:TIDIG_COMP_CNT: 2
	.section	.text._ZN9rocsparseL32gtsv_interleaved_batch_qr_kernelILj128E21rocsparse_complex_numIdEEEviiiPKT0_PS3_S6_S6_S6_,"axG",@progbits,_ZN9rocsparseL32gtsv_interleaved_batch_qr_kernelILj128E21rocsparse_complex_numIdEEEviiiPKT0_PS3_S6_S6_S6_,comdat
	.globl	_ZN9rocsparseL32gtsv_interleaved_batch_qr_kernelILj128E21rocsparse_complex_numIdEEEviiiPKT0_PS3_S6_S6_S6_ ; -- Begin function _ZN9rocsparseL32gtsv_interleaved_batch_qr_kernelILj128E21rocsparse_complex_numIdEEEviiiPKT0_PS3_S6_S6_S6_
	.p2align	8
	.type	_ZN9rocsparseL32gtsv_interleaved_batch_qr_kernelILj128E21rocsparse_complex_numIdEEEviiiPKT0_PS3_S6_S6_S6_,@function
_ZN9rocsparseL32gtsv_interleaved_batch_qr_kernelILj128E21rocsparse_complex_numIdEEEviiiPKT0_PS3_S6_S6_S6_: ; @_ZN9rocsparseL32gtsv_interleaved_batch_qr_kernelILj128E21rocsparse_complex_numIdEEEviiiPKT0_PS3_S6_S6_S6_
; %bb.0:
	s_load_b128 s[16:19], s[0:1], 0x0
	s_lshl_b32 s2, s15, 7
	s_mov_b32 s3, exec_lo
	v_or_b32_e32 v21, s2, v0
	s_waitcnt lgkmcnt(0)
	s_delay_alu instid0(VALU_DEP_1)
	v_cmpx_gt_i32_e64 s17, v21
	s_cbranch_execz .LBB11_13
; %bb.1:
	s_load_b256 s[4:11], s[0:1], 0x18
	s_add_i32 s3, s16, -1
	s_cmp_lt_i32 s16, 2
	s_cbranch_scc1 .LBB11_10
; %bb.2:
	v_ashrrev_i32_e32 v22, 31, v21
	s_load_b64 s[0:1], s[0:1], 0x10
	v_mov_b32_e32 v29, v21
	s_mov_b32 s12, s3
	s_delay_alu instid0(VALU_DEP_2) | instskip(SKIP_2) | instid1(VALU_DEP_2)
	v_lshlrev_b64 v[1:2], 4, v[21:22]
	v_mov_b32_e32 v22, v21
	s_waitcnt lgkmcnt(0)
	v_add_co_u32 v3, vcc_lo, s4, v1
	s_delay_alu instid0(VALU_DEP_3)
	v_add_co_ci_u32_e32 v4, vcc_lo, s5, v2, vcc_lo
	v_add_co_u32 v5, vcc_lo, s6, v1
	v_add_co_ci_u32_e32 v6, vcc_lo, s7, v2, vcc_lo
	global_load_b128 v[1:4], v[3:4], off
	global_load_b128 v[5:8], v[5:6], off
	s_branch .LBB11_4
.LBB11_3:                               ;   in Loop: Header=BB11_4 Depth=1
	s_or_b32 exec_lo, exec_lo, s13
	s_delay_alu instid0(VALU_DEP_1) | instskip(SKIP_2) | instid1(SALU_CYCLE_1)
	v_cmp_gt_f64_e32 vcc_lo, 0x10000000, v[36:37]
	v_mul_f64 v[55:56], 0x80000000, v[15:16]
	s_add_i32 s12, s12, -1
	s_cmp_eq_u32 s12, 0
	v_cndmask_b32_e64 v23, 0, 1, vcc_lo
	s_delay_alu instid0(VALU_DEP_1) | instskip(NEXT) | instid1(VALU_DEP_1)
	v_lshlrev_b32_e32 v23, 8, v23
	v_ldexp_f64 v[32:33], v[36:37], v23
	v_cndmask_b32_e64 v23, 0, 0xffffff80, vcc_lo
	s_delay_alu instid0(VALU_DEP_2) | instskip(SKIP_4) | instid1(VALU_DEP_1)
	v_rsq_f64_e32 v[34:35], v[32:33]
	v_cmp_class_f64_e64 vcc_lo, v[32:33], 0x260
	s_waitcnt_depctr 0xfff
	v_mul_f64 v[36:37], v[32:33], v[34:35]
	v_mul_f64 v[34:35], v[34:35], 0.5
	v_fma_f64 v[38:39], -v[34:35], v[36:37], 0.5
	s_delay_alu instid0(VALU_DEP_1) | instskip(SKIP_1) | instid1(VALU_DEP_2)
	v_fma_f64 v[36:37], v[36:37], v[38:39], v[36:37]
	v_fma_f64 v[34:35], v[34:35], v[38:39], v[34:35]
	v_fma_f64 v[38:39], -v[36:37], v[36:37], v[32:33]
	s_delay_alu instid0(VALU_DEP_1) | instskip(NEXT) | instid1(VALU_DEP_1)
	v_fma_f64 v[36:37], v[38:39], v[34:35], v[36:37]
	v_fma_f64 v[38:39], -v[36:37], v[36:37], v[32:33]
	s_delay_alu instid0(VALU_DEP_1) | instskip(NEXT) | instid1(VALU_DEP_1)
	v_fma_f64 v[34:35], v[38:39], v[34:35], v[36:37]
	v_ldexp_f64 v[34:35], v[34:35], v23
	v_ashrrev_i32_e32 v23, 31, v22
	s_delay_alu instid0(VALU_DEP_2) | instskip(SKIP_2) | instid1(VALU_DEP_3)
	v_dual_cndmask_b32 v40, v35, v33 :: v_dual_cndmask_b32 v39, v34, v32
	v_add_co_u32 v45, vcc_lo, s10, v30
	v_add_co_ci_u32_e32 v46, vcc_lo, s11, v31, vcc_lo
	v_fma_f64 v[41:42], v[39:40], v[39:40], 0
	v_ashrrev_i32_e32 v30, 31, v29
	global_load_b128 v[31:34], v[45:46], off
	v_lshlrev_b64 v[51:52], 4, v[29:30]
	s_delay_alu instid0(VALU_DEP_1) | instskip(NEXT) | instid1(VALU_DEP_2)
	v_add_co_u32 v53, vcc_lo, s10, v51
	v_add_co_ci_u32_e32 v54, vcc_lo, s11, v52, vcc_lo
	v_div_scale_f64 v[43:44], null, v[41:42], v[41:42], 1.0
	v_div_scale_f64 v[29:30], vcc_lo, 1.0, v[41:42], 1.0
	s_delay_alu instid0(VALU_DEP_2) | instskip(SKIP_2) | instid1(VALU_DEP_1)
	v_rcp_f64_e32 v[35:36], v[43:44]
	s_waitcnt_depctr 0xfff
	v_fma_f64 v[37:38], -v[43:44], v[35:36], 1.0
	v_fma_f64 v[47:48], v[35:36], v[37:38], v[35:36]
	global_load_b128 v[35:38], v[53:54], off
	v_fma_f64 v[49:50], -v[43:44], v[47:48], 1.0
	s_delay_alu instid0(VALU_DEP_1) | instskip(NEXT) | instid1(VALU_DEP_1)
	v_fma_f64 v[47:48], v[47:48], v[49:50], v[47:48]
	v_mul_f64 v[49:50], v[29:30], v[47:48]
	s_delay_alu instid0(VALU_DEP_1) | instskip(SKIP_1) | instid1(VALU_DEP_2)
	v_fma_f64 v[29:30], -v[43:44], v[49:50], v[29:30]
	v_mul_f64 v[43:44], 0x80000000, v[13:14]
	v_div_fmas_f64 v[29:30], v[29:30], v[47:48], v[49:50]
	v_mul_f64 v[47:48], 0x80000000, v[1:2]
	v_mul_f64 v[49:50], 0x80000000, v[3:4]
	s_delay_alu instid0(VALU_DEP_4) | instskip(NEXT) | instid1(VALU_DEP_4)
	v_fma_f64 v[43:44], -v[15:16], v[39:40], v[43:44]
	v_div_fixup_f64 v[29:30], v[29:30], v[41:42], 1.0
	s_delay_alu instid0(VALU_DEP_4) | instskip(NEXT) | instid1(VALU_DEP_4)
	v_fma_f64 v[41:42], -v[3:4], v[39:40], v[47:48]
	v_fma_f64 v[47:48], v[1:2], v[39:40], v[49:50]
	v_fma_f64 v[39:40], v[13:14], v[39:40], v[55:56]
	s_delay_alu instid0(VALU_DEP_4) | instskip(NEXT) | instid1(VALU_DEP_4)
	v_mul_f64 v[43:44], v[43:44], v[29:30]
	v_mul_f64 v[41:42], v[41:42], v[29:30]
	s_delay_alu instid0(VALU_DEP_4) | instskip(NEXT) | instid1(VALU_DEP_4)
	v_mul_f64 v[47:48], v[47:48], v[29:30]
	v_mul_f64 v[29:30], v[39:40], v[29:30]
	s_delay_alu instid0(VALU_DEP_4)
	v_mul_f64 v[39:40], v[43:44], -v[15:16]
	v_mul_f64 v[49:50], v[13:14], v[43:44]
	s_waitcnt vmcnt(3)
	v_mul_f64 v[55:56], v[19:20], v[41:42]
	v_mul_f64 v[57:58], v[17:18], -v[41:42]
	v_mul_f64 v[59:60], v[43:44], -v[19:20]
	v_mul_f64 v[61:62], v[17:18], v[43:44]
	s_waitcnt vmcnt(1)
	v_mul_f64 v[63:64], v[43:44], -v[33:34]
	v_mul_f64 v[65:66], v[43:44], v[31:32]
	v_mul_f64 v[67:68], v[41:42], v[33:34]
	v_mul_f64 v[69:70], v[31:32], -v[41:42]
	v_mul_f64 v[71:72], v[11:12], v[41:42]
	v_mul_f64 v[73:74], v[9:10], -v[41:42]
	v_fma_f64 v[13:14], v[13:14], v[29:30], v[39:40]
	v_fma_f64 v[15:16], v[15:16], v[29:30], v[49:50]
	;; [unrolled: 1-line block ×10, first 2 shown]
	v_mul_f64 v[59:60], v[43:44], -v[11:12]
	v_mul_f64 v[61:62], v[9:10], v[43:44]
	v_fma_f64 v[63:64], v[1:2], v[47:48], v[13:14]
	v_fma_f64 v[65:66], v[3:4], v[47:48], v[15:16]
	v_fma_f64 v[39:40], -v[5:6], v[29:30], v[39:40]
	v_fma_f64 v[49:50], -v[7:8], v[29:30], v[49:50]
	v_fma_f64 v[67:68], v[5:6], v[47:48], v[17:18]
	v_fma_f64 v[69:70], v[7:8], v[47:48], v[19:20]
	s_waitcnt vmcnt(0)
	v_fma_f64 v[55:56], v[35:36], v[47:48], v[55:56]
	v_fma_f64 v[57:58], v[37:38], v[47:48], v[57:58]
	v_fma_f64 v[75:76], -v[35:36], v[29:30], v[31:32]
	v_fma_f64 v[77:78], -v[37:38], v[29:30], v[33:34]
	v_fma_f64 v[13:14], v[9:10], v[29:30], v[59:60]
	v_fma_f64 v[15:16], v[11:12], v[29:30], v[61:62]
	v_mov_b32_e32 v29, v24
	v_fma_f64 v[17:18], -v[3:4], v[41:42], v[63:64]
	v_fma_f64 v[19:20], v[1:2], v[41:42], v[65:66]
	v_fma_f64 v[1:2], v[7:8], -v[43:44], v[39:40]
	v_fma_f64 v[3:4], v[5:6], v[43:44], v[49:50]
	v_fma_f64 v[30:31], -v[7:8], v[41:42], v[67:68]
	v_fma_f64 v[32:33], v[5:6], v[41:42], v[69:70]
	v_fma_f64 v[5:6], v[9:10], v[47:48], v[71:72]
	;; [unrolled: 1-line block ×3, first 2 shown]
	v_fma_f64 v[9:10], -v[37:38], v[41:42], v[55:56]
	v_fma_f64 v[11:12], v[35:36], v[41:42], v[57:58]
	v_fma_f64 v[37:38], v[37:38], -v[43:44], v[75:76]
	v_fma_f64 v[39:40], v[35:36], v[43:44], v[77:78]
	v_lshlrev_b64 v[34:35], 4, v[22:23]
	v_add_co_u32 v41, vcc_lo, s4, v51
	v_add_co_ci_u32_e32 v42, vcc_lo, s5, v52, vcc_lo
	v_add_nc_u32_e32 v22, s17, v22
	s_delay_alu instid0(VALU_DEP_4)
	v_add_co_u32 v34, vcc_lo, s8, v34
	v_add_co_ci_u32_e32 v35, vcc_lo, s9, v35, vcc_lo
	v_add_co_u32 v43, vcc_lo, s6, v51
	v_add_co_ci_u32_e32 v44, vcc_lo, s7, v52, vcc_lo
	global_store_b128 v[34:35], v[13:16], off
	s_clause 0x1
	global_store_b128 v[41:42], v[17:20], off
	global_store_b128 v[25:26], v[1:4], off
	s_clause 0x1
	global_store_b128 v[43:44], v[30:33], off
	;; [unrolled: 3-line block ×3, first 2 shown]
	global_store_b128 v[45:46], v[37:40], off
	s_cbranch_scc1 .LBB11_10
.LBB11_4:                               ; =>This Inner Loop Header: Depth=1
	v_add_nc_u32_e32 v24, s18, v29
	s_waitcnt vmcnt(1)
	v_mul_f64 v[32:33], v[1:2], -v[3:4]
	v_mul_f64 v[36:37], v[3:4], v[3:4]
	s_mov_b32 s13, exec_lo
	v_ashrrev_i32_e32 v25, 31, v24
	s_delay_alu instid0(VALU_DEP_1) | instskip(NEXT) | instid1(VALU_DEP_1)
	v_lshlrev_b64 v[30:31], 4, v[24:25]
	v_add_co_u32 v9, vcc_lo, s0, v30
	s_delay_alu instid0(VALU_DEP_2)
	v_add_co_ci_u32_e32 v10, vcc_lo, s1, v31, vcc_lo
	v_add_co_u32 v25, vcc_lo, s4, v30
	v_add_co_ci_u32_e32 v26, vcc_lo, s5, v31, vcc_lo
	global_load_b128 v[13:16], v[9:10], off
	v_add_co_u32 v27, vcc_lo, s6, v30
	v_add_co_ci_u32_e32 v28, vcc_lo, s7, v31, vcc_lo
	global_load_b128 v[17:20], v[25:26], off
	global_load_b128 v[9:12], v[27:28], off
	v_fma_f64 v[32:33], v[3:4], v[1:2], v[32:33]
	s_waitcnt vmcnt(2)
	v_mul_f64 v[34:35], v[13:14], -v[15:16]
	v_mul_f64 v[40:41], v[15:16], v[15:16]
	s_delay_alu instid0(VALU_DEP_2) | instskip(NEXT) | instid1(VALU_DEP_1)
	v_fma_f64 v[34:35], v[15:16], v[13:14], v[34:35]
	v_add_f64 v[38:39], v[34:35], v[32:33]
	v_fma_f64 v[32:33], v[1:2], v[1:2], v[36:37]
	s_delay_alu instid0(VALU_DEP_4) | instskip(NEXT) | instid1(VALU_DEP_3)
	v_fma_f64 v[34:35], v[13:14], v[13:14], v[40:41]
                                        ; implicit-def: $vgpr36_vgpr37
	v_cmp_gt_f64_e32 vcc_lo, 0, v[38:39]
	v_xor_b32_e32 v23, 0x80000000, v39
	s_delay_alu instid0(VALU_DEP_3) | instskip(NEXT) | instid1(VALU_DEP_2)
	v_add_f64 v[32:33], v[34:35], v[32:33]
	v_dual_cndmask_b32 v35, v39, v23 :: v_dual_cndmask_b32 v34, v38, v38
	s_delay_alu instid0(VALU_DEP_1)
	v_cmpx_ngt_f64_e32 v[32:33], v[34:35]
	s_xor_b32 s13, exec_lo, s13
	s_cbranch_execz .LBB11_8
; %bb.5:                                ;   in Loop: Header=BB11_4 Depth=1
	v_mov_b32_e32 v36, 0
	v_mov_b32_e32 v37, 0
	s_mov_b32 s14, exec_lo
	v_cmpx_neq_f64_e32 0, v[38:39]
	s_cbranch_execz .LBB11_7
; %bb.6:                                ;   in Loop: Header=BB11_4 Depth=1
	v_div_scale_f64 v[36:37], null, v[34:35], v[34:35], v[32:33]
	v_div_scale_f64 v[42:43], vcc_lo, v[32:33], v[34:35], v[32:33]
	s_delay_alu instid0(VALU_DEP_2) | instskip(SKIP_2) | instid1(VALU_DEP_1)
	v_rcp_f64_e32 v[38:39], v[36:37]
	s_waitcnt_depctr 0xfff
	v_fma_f64 v[40:41], -v[36:37], v[38:39], 1.0
	v_fma_f64 v[38:39], v[38:39], v[40:41], v[38:39]
	s_delay_alu instid0(VALU_DEP_1) | instskip(NEXT) | instid1(VALU_DEP_1)
	v_fma_f64 v[40:41], -v[36:37], v[38:39], 1.0
	v_fma_f64 v[38:39], v[38:39], v[40:41], v[38:39]
	s_delay_alu instid0(VALU_DEP_1) | instskip(NEXT) | instid1(VALU_DEP_1)
	v_mul_f64 v[40:41], v[42:43], v[38:39]
	v_fma_f64 v[36:37], -v[36:37], v[40:41], v[42:43]
	s_delay_alu instid0(VALU_DEP_1) | instskip(NEXT) | instid1(VALU_DEP_1)
	v_div_fmas_f64 v[36:37], v[36:37], v[38:39], v[40:41]
	v_div_fixup_f64 v[32:33], v[36:37], v[34:35], v[32:33]
	s_delay_alu instid0(VALU_DEP_1) | instskip(NEXT) | instid1(VALU_DEP_1)
	v_fma_f64 v[32:33], v[32:33], v[32:33], 1.0
	v_cmp_gt_f64_e32 vcc_lo, 0x10000000, v[32:33]
	v_cndmask_b32_e64 v23, 0, 1, vcc_lo
	s_delay_alu instid0(VALU_DEP_1) | instskip(NEXT) | instid1(VALU_DEP_1)
	v_lshlrev_b32_e32 v23, 8, v23
	v_ldexp_f64 v[32:33], v[32:33], v23
	v_cndmask_b32_e64 v23, 0, 0xffffff80, vcc_lo
	s_delay_alu instid0(VALU_DEP_2) | instskip(SKIP_4) | instid1(VALU_DEP_1)
	v_rsq_f64_e32 v[36:37], v[32:33]
	v_cmp_class_f64_e64 vcc_lo, v[32:33], 0x260
	s_waitcnt_depctr 0xfff
	v_mul_f64 v[38:39], v[32:33], v[36:37]
	v_mul_f64 v[36:37], v[36:37], 0.5
	v_fma_f64 v[40:41], -v[36:37], v[38:39], 0.5
	s_delay_alu instid0(VALU_DEP_1) | instskip(SKIP_1) | instid1(VALU_DEP_2)
	v_fma_f64 v[38:39], v[38:39], v[40:41], v[38:39]
	v_fma_f64 v[36:37], v[36:37], v[40:41], v[36:37]
	v_fma_f64 v[40:41], -v[38:39], v[38:39], v[32:33]
	s_delay_alu instid0(VALU_DEP_1) | instskip(NEXT) | instid1(VALU_DEP_1)
	v_fma_f64 v[38:39], v[40:41], v[36:37], v[38:39]
	v_fma_f64 v[40:41], -v[38:39], v[38:39], v[32:33]
	s_delay_alu instid0(VALU_DEP_1) | instskip(NEXT) | instid1(VALU_DEP_1)
	v_fma_f64 v[36:37], v[40:41], v[36:37], v[38:39]
	v_ldexp_f64 v[36:37], v[36:37], v23
	s_delay_alu instid0(VALU_DEP_1) | instskip(NEXT) | instid1(VALU_DEP_1)
	v_dual_cndmask_b32 v32, v36, v32 :: v_dual_cndmask_b32 v33, v37, v33
	v_mul_f64 v[36:37], v[34:35], v[32:33]
.LBB11_7:                               ;   in Loop: Header=BB11_4 Depth=1
	s_or_b32 exec_lo, exec_lo, s14
                                        ; implicit-def: $vgpr32_vgpr33
                                        ; implicit-def: $vgpr34_vgpr35
.LBB11_8:                               ;   in Loop: Header=BB11_4 Depth=1
	s_and_not1_saveexec_b32 s13, s13
	s_cbranch_execz .LBB11_3
; %bb.9:                                ;   in Loop: Header=BB11_4 Depth=1
	v_div_scale_f64 v[36:37], null, v[32:33], v[32:33], v[34:35]
	v_div_scale_f64 v[42:43], vcc_lo, v[34:35], v[32:33], v[34:35]
	s_delay_alu instid0(VALU_DEP_2) | instskip(SKIP_2) | instid1(VALU_DEP_1)
	v_rcp_f64_e32 v[38:39], v[36:37]
	s_waitcnt_depctr 0xfff
	v_fma_f64 v[40:41], -v[36:37], v[38:39], 1.0
	v_fma_f64 v[38:39], v[38:39], v[40:41], v[38:39]
	s_delay_alu instid0(VALU_DEP_1) | instskip(NEXT) | instid1(VALU_DEP_1)
	v_fma_f64 v[40:41], -v[36:37], v[38:39], 1.0
	v_fma_f64 v[38:39], v[38:39], v[40:41], v[38:39]
	s_delay_alu instid0(VALU_DEP_1) | instskip(NEXT) | instid1(VALU_DEP_1)
	v_mul_f64 v[40:41], v[42:43], v[38:39]
	v_fma_f64 v[36:37], -v[36:37], v[40:41], v[42:43]
	s_delay_alu instid0(VALU_DEP_1) | instskip(NEXT) | instid1(VALU_DEP_1)
	v_div_fmas_f64 v[36:37], v[36:37], v[38:39], v[40:41]
	v_div_fixup_f64 v[34:35], v[36:37], v[32:33], v[34:35]
	s_delay_alu instid0(VALU_DEP_1) | instskip(NEXT) | instid1(VALU_DEP_1)
	v_fma_f64 v[34:35], v[34:35], v[34:35], 1.0
	v_cmp_gt_f64_e32 vcc_lo, 0x10000000, v[34:35]
	v_cndmask_b32_e64 v23, 0, 1, vcc_lo
	s_delay_alu instid0(VALU_DEP_1) | instskip(NEXT) | instid1(VALU_DEP_1)
	v_lshlrev_b32_e32 v23, 8, v23
	v_ldexp_f64 v[34:35], v[34:35], v23
	v_cndmask_b32_e64 v23, 0, 0xffffff80, vcc_lo
	s_delay_alu instid0(VALU_DEP_2) | instskip(SKIP_4) | instid1(VALU_DEP_1)
	v_rsq_f64_e32 v[36:37], v[34:35]
	v_cmp_class_f64_e64 vcc_lo, v[34:35], 0x260
	s_waitcnt_depctr 0xfff
	v_mul_f64 v[38:39], v[34:35], v[36:37]
	v_mul_f64 v[36:37], v[36:37], 0.5
	v_fma_f64 v[40:41], -v[36:37], v[38:39], 0.5
	s_delay_alu instid0(VALU_DEP_1) | instskip(SKIP_1) | instid1(VALU_DEP_2)
	v_fma_f64 v[38:39], v[38:39], v[40:41], v[38:39]
	v_fma_f64 v[36:37], v[36:37], v[40:41], v[36:37]
	v_fma_f64 v[40:41], -v[38:39], v[38:39], v[34:35]
	s_delay_alu instid0(VALU_DEP_1) | instskip(NEXT) | instid1(VALU_DEP_1)
	v_fma_f64 v[38:39], v[40:41], v[36:37], v[38:39]
	v_fma_f64 v[40:41], -v[38:39], v[38:39], v[34:35]
	s_delay_alu instid0(VALU_DEP_1) | instskip(NEXT) | instid1(VALU_DEP_1)
	v_fma_f64 v[36:37], v[40:41], v[36:37], v[38:39]
	v_ldexp_f64 v[36:37], v[36:37], v23
	s_delay_alu instid0(VALU_DEP_1) | instskip(NEXT) | instid1(VALU_DEP_1)
	v_dual_cndmask_b32 v34, v36, v34 :: v_dual_cndmask_b32 v35, v37, v35
	v_mul_f64 v[36:37], v[32:33], v[34:35]
	s_branch .LBB11_3
.LBB11_10:
	s_mul_i32 s3, s3, s18
	s_delay_alu instid0(SALU_CYCLE_1) | instskip(SKIP_3) | instid1(VALU_DEP_2)
	v_add_nc_u32_e32 v1, s3, v21
	s_sub_i32 s0, s3, s18
	s_cmp_lt_i32 s16, 3
	v_add_nc_u32_e32 v9, s0, v21
	v_ashrrev_i32_e32 v2, 31, v1
	s_delay_alu instid0(VALU_DEP_2) | instskip(NEXT) | instid1(VALU_DEP_2)
	v_ashrrev_i32_e32 v10, 31, v9
	v_lshlrev_b64 v[5:6], 4, v[1:2]
	s_delay_alu instid0(VALU_DEP_2) | instskip(SKIP_1) | instid1(VALU_DEP_2)
	v_lshlrev_b64 v[22:23], 4, v[9:10]
	s_waitcnt lgkmcnt(0)
	v_add_co_u32 v1, vcc_lo, s4, v5
	s_delay_alu instid0(VALU_DEP_3)
	v_add_co_ci_u32_e32 v2, vcc_lo, s5, v6, vcc_lo
	v_add_co_u32 v15, vcc_lo, s10, v5
	v_add_co_ci_u32_e32 v16, vcc_lo, s11, v6, vcc_lo
	global_load_b128 v[1:4], v[1:2], off
	v_add_co_u32 v9, vcc_lo, s4, v22
	v_add_co_ci_u32_e32 v10, vcc_lo, s5, v23, vcc_lo
	global_load_b128 v[9:12], v[9:10], off
	s_waitcnt vmcnt(1)
	v_mul_f64 v[7:8], v[3:4], v[3:4]
	s_delay_alu instid0(VALU_DEP_1) | instskip(SKIP_3) | instid1(VALU_DEP_2)
	v_fma_f64 v[13:14], v[1:2], v[1:2], v[7:8]
	global_load_b128 v[5:8], v[15:16], off
	v_div_scale_f64 v[17:18], null, v[13:14], v[13:14], 1.0
	v_div_scale_f64 v[26:27], vcc_lo, 1.0, v[13:14], 1.0
	v_rcp_f64_e32 v[19:20], v[17:18]
	s_waitcnt_depctr 0xfff
	v_fma_f64 v[24:25], -v[17:18], v[19:20], 1.0
	s_delay_alu instid0(VALU_DEP_1) | instskip(NEXT) | instid1(VALU_DEP_1)
	v_fma_f64 v[19:20], v[19:20], v[24:25], v[19:20]
	v_fma_f64 v[24:25], -v[17:18], v[19:20], 1.0
	s_delay_alu instid0(VALU_DEP_1) | instskip(NEXT) | instid1(VALU_DEP_1)
	v_fma_f64 v[19:20], v[19:20], v[24:25], v[19:20]
	v_mul_f64 v[24:25], v[26:27], v[19:20]
	s_delay_alu instid0(VALU_DEP_1) | instskip(SKIP_3) | instid1(VALU_DEP_3)
	v_fma_f64 v[17:18], -v[17:18], v[24:25], v[26:27]
	s_waitcnt vmcnt(0)
	v_mul_f64 v[26:27], v[3:4], v[7:8]
	v_mul_f64 v[3:4], v[3:4], -v[5:6]
	v_div_fmas_f64 v[17:18], v[17:18], v[19:20], v[24:25]
	v_add_co_u32 v19, vcc_lo, s6, v22
	v_add_co_ci_u32_e32 v20, vcc_lo, s7, v23, vcc_lo
	v_fma_f64 v[5:6], v[5:6], v[1:2], v[26:27]
	v_fma_f64 v[7:8], v[7:8], v[1:2], v[3:4]
	global_load_b128 v[1:4], v[19:20], off
	v_add_co_u32 v19, vcc_lo, s10, v22
	v_add_co_ci_u32_e32 v20, vcc_lo, s11, v23, vcc_lo
	v_div_fixup_f64 v[13:14], v[17:18], v[13:14], 1.0
	v_mul_f64 v[17:18], v[11:12], v[11:12]
	s_delay_alu instid0(VALU_DEP_2) | instskip(SKIP_1) | instid1(VALU_DEP_3)
	v_mul_f64 v[5:6], v[13:14], v[5:6]
	v_mul_f64 v[7:8], v[13:14], v[7:8]
	v_fma_f64 v[17:18], v[9:10], v[9:10], v[17:18]
	global_store_b128 v[15:16], v[5:8], off
	global_load_b128 v[13:16], v[19:20], off
	v_div_scale_f64 v[22:23], null, v[17:18], v[17:18], 1.0
	v_div_scale_f64 v[28:29], vcc_lo, 1.0, v[17:18], 1.0
	s_delay_alu instid0(VALU_DEP_2) | instskip(SKIP_2) | instid1(VALU_DEP_1)
	v_rcp_f64_e32 v[24:25], v[22:23]
	s_waitcnt_depctr 0xfff
	v_fma_f64 v[26:27], -v[22:23], v[24:25], 1.0
	v_fma_f64 v[24:25], v[24:25], v[26:27], v[24:25]
	s_delay_alu instid0(VALU_DEP_1) | instskip(NEXT) | instid1(VALU_DEP_1)
	v_fma_f64 v[26:27], -v[22:23], v[24:25], 1.0
	v_fma_f64 v[24:25], v[24:25], v[26:27], v[24:25]
	s_waitcnt vmcnt(1)
	v_mul_f64 v[26:27], v[7:8], v[1:2]
	v_mul_f64 v[7:8], v[7:8], -v[3:4]
	s_delay_alu instid0(VALU_DEP_3) | instskip(NEXT) | instid1(VALU_DEP_3)
	v_mul_f64 v[30:31], v[28:29], v[24:25]
	v_fma_f64 v[3:4], v[3:4], v[5:6], v[26:27]
	s_delay_alu instid0(VALU_DEP_3) | instskip(NEXT) | instid1(VALU_DEP_3)
	v_fma_f64 v[1:2], v[1:2], v[5:6], v[7:8]
	v_fma_f64 v[5:6], -v[22:23], v[30:31], v[28:29]
	s_delay_alu instid0(VALU_DEP_1) | instskip(SKIP_1) | instid1(VALU_DEP_4)
	v_div_fmas_f64 v[5:6], v[5:6], v[24:25], v[30:31]
	s_waitcnt vmcnt(0)
	v_add_f64 v[3:4], v[15:16], -v[3:4]
	s_delay_alu instid0(VALU_DEP_4) | instskip(NEXT) | instid1(VALU_DEP_3)
	v_add_f64 v[1:2], v[13:14], -v[1:2]
	v_div_fixup_f64 v[5:6], v[5:6], v[17:18], 1.0
	s_delay_alu instid0(VALU_DEP_3) | instskip(NEXT) | instid1(VALU_DEP_3)
	v_mul_f64 v[7:8], v[3:4], v[11:12]
	v_mul_f64 v[11:12], v[11:12], -v[1:2]
	s_delay_alu instid0(VALU_DEP_2) | instskip(NEXT) | instid1(VALU_DEP_2)
	v_fma_f64 v[1:2], v[1:2], v[9:10], v[7:8]
	v_fma_f64 v[3:4], v[3:4], v[9:10], v[11:12]
	s_delay_alu instid0(VALU_DEP_2) | instskip(NEXT) | instid1(VALU_DEP_2)
	v_mul_f64 v[1:2], v[1:2], v[5:6]
	v_mul_f64 v[3:4], v[3:4], v[5:6]
	global_store_b128 v[19:20], v[1:4], off
	s_cbranch_scc1 .LBB11_13
; %bb.11:
	s_add_i32 s12, s16, -3
	s_add_i32 s0, s16, -2
	s_mul_i32 s1, s17, s12
	s_delay_alu instid0(SALU_CYCLE_1)
	v_add3_u32 v0, s2, s1, v0
	s_mul_i32 s1, s18, s0
	s_mul_i32 s2, s18, s12
.LBB11_12:                              ; =>This Inner Loop Header: Depth=1
	s_delay_alu instid0(SALU_CYCLE_1)
	v_add_nc_u32_e32 v1, s2, v21
	v_add_nc_u32_e32 v6, s1, v21
	;; [unrolled: 1-line block ×3, first 2 shown]
	v_subrev_nc_u32_e32 v21, s18, v21
	s_add_i32 s0, s0, -1
	v_ashrrev_i32_e32 v2, 31, v1
	v_ashrrev_i32_e32 v7, 31, v6
	;; [unrolled: 1-line block ×3, first 2 shown]
	s_cmp_lg_u32 s0, 0
	s_delay_alu instid0(VALU_DEP_3) | instskip(NEXT) | instid1(VALU_DEP_3)
	v_lshlrev_b64 v[18:19], 4, v[1:2]
	v_lshlrev_b64 v[6:7], 4, v[6:7]
	s_delay_alu instid0(VALU_DEP_3) | instskip(NEXT) | instid1(VALU_DEP_3)
	v_lshlrev_b64 v[14:15], 4, v[14:15]
	v_add_co_u32 v1, vcc_lo, s4, v18
	s_delay_alu instid0(VALU_DEP_4) | instskip(NEXT) | instid1(VALU_DEP_4)
	v_add_co_ci_u32_e32 v2, vcc_lo, s5, v19, vcc_lo
	v_add_co_u32 v6, vcc_lo, s10, v6
	v_add_co_ci_u32_e32 v7, vcc_lo, s11, v7, vcc_lo
	global_load_b128 v[2:5], v[1:2], off
	v_add_co_u32 v10, vcc_lo, s6, v18
	v_add_co_ci_u32_e32 v11, vcc_lo, s7, v19, vcc_lo
	global_load_b128 v[6:9], v[6:7], off
	global_load_b128 v[10:13], v[10:11], off
	v_ashrrev_i32_e32 v1, 31, v0
	s_delay_alu instid0(VALU_DEP_1) | instskip(SKIP_1) | instid1(VALU_DEP_2)
	v_lshlrev_b64 v[16:17], 4, v[0:1]
	v_subrev_nc_u32_e32 v0, s17, v0
	v_add_co_u32 v16, vcc_lo, s8, v16
	s_delay_alu instid0(VALU_DEP_3)
	v_add_co_ci_u32_e32 v17, vcc_lo, s9, v17, vcc_lo
	v_add_co_u32 v22, vcc_lo, s10, v14
	v_add_co_ci_u32_e32 v23, vcc_lo, s11, v15, vcc_lo
	global_load_b128 v[14:17], v[16:17], off
	global_load_b128 v[22:25], v[22:23], off
	v_add_co_u32 v18, vcc_lo, s10, v18
	v_add_co_ci_u32_e32 v19, vcc_lo, s11, v19, vcc_lo
	global_load_b128 v[26:29], v[18:19], off
	s_waitcnt vmcnt(5)
	v_mul_f64 v[30:31], v[4:5], v[4:5]
	s_waitcnt vmcnt(1)
	v_mul_f64 v[40:41], v[24:25], -v[16:17]
	v_mul_f64 v[24:25], v[24:25], v[14:15]
	s_delay_alu instid0(VALU_DEP_3) | instskip(NEXT) | instid1(VALU_DEP_3)
	v_fma_f64 v[30:31], v[2:3], v[2:3], v[30:31]
	v_fma_f64 v[14:15], v[14:15], v[22:23], v[40:41]
	s_delay_alu instid0(VALU_DEP_3) | instskip(NEXT) | instid1(VALU_DEP_3)
	v_fma_f64 v[16:17], v[16:17], v[22:23], v[24:25]
	v_div_scale_f64 v[32:33], null, v[30:31], v[30:31], 1.0
	s_delay_alu instid0(VALU_DEP_1) | instskip(SKIP_2) | instid1(VALU_DEP_1)
	v_rcp_f64_e32 v[34:35], v[32:33]
	s_waitcnt_depctr 0xfff
	v_fma_f64 v[36:37], -v[32:33], v[34:35], 1.0
	v_fma_f64 v[34:35], v[34:35], v[36:37], v[34:35]
	v_mul_f64 v[36:37], v[8:9], v[10:11]
	v_mul_f64 v[8:9], v[8:9], -v[12:13]
	s_delay_alu instid0(VALU_DEP_3) | instskip(NEXT) | instid1(VALU_DEP_3)
	v_fma_f64 v[38:39], -v[32:33], v[34:35], 1.0
	v_fma_f64 v[12:13], v[12:13], v[6:7], v[36:37]
	s_delay_alu instid0(VALU_DEP_3) | instskip(SKIP_1) | instid1(VALU_DEP_4)
	v_fma_f64 v[6:7], v[10:11], v[6:7], v[8:9]
	v_div_scale_f64 v[8:9], vcc_lo, 1.0, v[30:31], 1.0
	v_fma_f64 v[10:11], v[34:35], v[38:39], v[34:35]
	s_waitcnt vmcnt(0)
	s_delay_alu instid0(VALU_DEP_4) | instskip(NEXT) | instid1(VALU_DEP_4)
	v_add_f64 v[12:13], v[28:29], -v[12:13]
	v_add_f64 v[6:7], v[26:27], -v[6:7]
	s_delay_alu instid0(VALU_DEP_3) | instskip(NEXT) | instid1(VALU_DEP_3)
	v_mul_f64 v[22:23], v[8:9], v[10:11]
	v_add_f64 v[12:13], v[12:13], -v[16:17]
	s_delay_alu instid0(VALU_DEP_3) | instskip(NEXT) | instid1(VALU_DEP_3)
	v_add_f64 v[6:7], v[6:7], -v[14:15]
	v_fma_f64 v[8:9], -v[32:33], v[22:23], v[8:9]
	s_delay_alu instid0(VALU_DEP_3) | instskip(NEXT) | instid1(VALU_DEP_3)
	v_mul_f64 v[14:15], v[12:13], v[4:5]
	v_mul_f64 v[4:5], v[4:5], -v[6:7]
	s_delay_alu instid0(VALU_DEP_3) | instskip(NEXT) | instid1(VALU_DEP_3)
	v_div_fmas_f64 v[8:9], v[8:9], v[10:11], v[22:23]
	v_fma_f64 v[6:7], v[6:7], v[2:3], v[14:15]
	s_delay_alu instid0(VALU_DEP_3) | instskip(NEXT) | instid1(VALU_DEP_3)
	v_fma_f64 v[3:4], v[12:13], v[2:3], v[4:5]
	v_div_fixup_f64 v[8:9], v[8:9], v[30:31], 1.0
	s_delay_alu instid0(VALU_DEP_1) | instskip(NEXT) | instid1(VALU_DEP_3)
	v_mul_f64 v[1:2], v[6:7], v[8:9]
	v_mul_f64 v[3:4], v[8:9], v[3:4]
	global_store_b128 v[18:19], v[1:4], off
	s_cbranch_scc1 .LBB11_12
.LBB11_13:
	s_nop 0
	s_sendmsg sendmsg(MSG_DEALLOC_VGPRS)
	s_endpgm
	.section	.rodata,"a",@progbits
	.p2align	6, 0x0
	.amdhsa_kernel _ZN9rocsparseL32gtsv_interleaved_batch_qr_kernelILj128E21rocsparse_complex_numIdEEEviiiPKT0_PS3_S6_S6_S6_
		.amdhsa_group_segment_fixed_size 0
		.amdhsa_private_segment_fixed_size 0
		.amdhsa_kernarg_size 56
		.amdhsa_user_sgpr_count 15
		.amdhsa_user_sgpr_dispatch_ptr 0
		.amdhsa_user_sgpr_queue_ptr 0
		.amdhsa_user_sgpr_kernarg_segment_ptr 1
		.amdhsa_user_sgpr_dispatch_id 0
		.amdhsa_user_sgpr_private_segment_size 0
		.amdhsa_wavefront_size32 1
		.amdhsa_uses_dynamic_stack 0
		.amdhsa_enable_private_segment 0
		.amdhsa_system_sgpr_workgroup_id_x 1
		.amdhsa_system_sgpr_workgroup_id_y 0
		.amdhsa_system_sgpr_workgroup_id_z 0
		.amdhsa_system_sgpr_workgroup_info 0
		.amdhsa_system_vgpr_workitem_id 0
		.amdhsa_next_free_vgpr 79
		.amdhsa_next_free_sgpr 20
		.amdhsa_reserve_vcc 1
		.amdhsa_float_round_mode_32 0
		.amdhsa_float_round_mode_16_64 0
		.amdhsa_float_denorm_mode_32 3
		.amdhsa_float_denorm_mode_16_64 3
		.amdhsa_dx10_clamp 1
		.amdhsa_ieee_mode 1
		.amdhsa_fp16_overflow 0
		.amdhsa_workgroup_processor_mode 1
		.amdhsa_memory_ordered 1
		.amdhsa_forward_progress 0
		.amdhsa_shared_vgpr_count 0
		.amdhsa_exception_fp_ieee_invalid_op 0
		.amdhsa_exception_fp_denorm_src 0
		.amdhsa_exception_fp_ieee_div_zero 0
		.amdhsa_exception_fp_ieee_overflow 0
		.amdhsa_exception_fp_ieee_underflow 0
		.amdhsa_exception_fp_ieee_inexact 0
		.amdhsa_exception_int_div_zero 0
	.end_amdhsa_kernel
	.section	.text._ZN9rocsparseL32gtsv_interleaved_batch_qr_kernelILj128E21rocsparse_complex_numIdEEEviiiPKT0_PS3_S6_S6_S6_,"axG",@progbits,_ZN9rocsparseL32gtsv_interleaved_batch_qr_kernelILj128E21rocsparse_complex_numIdEEEviiiPKT0_PS3_S6_S6_S6_,comdat
.Lfunc_end11:
	.size	_ZN9rocsparseL32gtsv_interleaved_batch_qr_kernelILj128E21rocsparse_complex_numIdEEEviiiPKT0_PS3_S6_S6_S6_, .Lfunc_end11-_ZN9rocsparseL32gtsv_interleaved_batch_qr_kernelILj128E21rocsparse_complex_numIdEEEviiiPKT0_PS3_S6_S6_S6_
                                        ; -- End function
	.section	.AMDGPU.csdata,"",@progbits
; Kernel info:
; codeLenInByte = 3204
; NumSgprs: 22
; NumVgprs: 79
; ScratchSize: 0
; MemoryBound: 1
; FloatMode: 240
; IeeeMode: 1
; LDSByteSize: 0 bytes/workgroup (compile time only)
; SGPRBlocks: 2
; VGPRBlocks: 9
; NumSGPRsForWavesPerEU: 22
; NumVGPRsForWavesPerEU: 79
; Occupancy: 16
; WaveLimiterHint : 0
; COMPUTE_PGM_RSRC2:SCRATCH_EN: 0
; COMPUTE_PGM_RSRC2:USER_SGPR: 15
; COMPUTE_PGM_RSRC2:TRAP_HANDLER: 0
; COMPUTE_PGM_RSRC2:TGID_X_EN: 1
; COMPUTE_PGM_RSRC2:TGID_Y_EN: 0
; COMPUTE_PGM_RSRC2:TGID_Z_EN: 0
; COMPUTE_PGM_RSRC2:TIDIG_COMP_CNT: 0
	.text
	.p2alignl 7, 3214868480
	.fill 96, 4, 3214868480
	.type	__hip_cuid_3568d7fe548af2dc,@object ; @__hip_cuid_3568d7fe548af2dc
	.section	.bss,"aw",@nobits
	.globl	__hip_cuid_3568d7fe548af2dc
__hip_cuid_3568d7fe548af2dc:
	.byte	0                               ; 0x0
	.size	__hip_cuid_3568d7fe548af2dc, 1

	.ident	"AMD clang version 19.0.0git (https://github.com/RadeonOpenCompute/llvm-project roc-6.4.0 25133 c7fe45cf4b819c5991fe208aaa96edf142730f1d)"
	.section	".note.GNU-stack","",@progbits
	.addrsig
	.addrsig_sym __hip_cuid_3568d7fe548af2dc
	.amdgpu_metadata
---
amdhsa.kernels:
  - .args:
      - .offset:         0
        .size:           4
        .value_kind:     by_value
      - .offset:         4
        .size:           4
        .value_kind:     by_value
      - .offset:         8
        .size:           4
        .value_kind:     by_value
      - .actual_access:  read_only
        .address_space:  global
        .offset:         16
        .size:           8
        .value_kind:     global_buffer
      - .actual_access:  read_only
        .address_space:  global
        .offset:         24
        .size:           8
        .value_kind:     global_buffer
      - .actual_access:  read_only
        .address_space:  global
        .offset:         32
        .size:           8
        .value_kind:     global_buffer
      - .address_space:  global
        .offset:         40
        .size:           8
        .value_kind:     global_buffer
      - .address_space:  global
        .offset:         48
        .size:           8
        .value_kind:     global_buffer
      - .address_space:  global
        .offset:         56
        .size:           8
        .value_kind:     global_buffer
    .group_segment_fixed_size: 0
    .kernarg_segment_align: 8
    .kernarg_segment_size: 64
    .language:       OpenCL C
    .language_version:
      - 2
      - 0
    .max_flat_workgroup_size: 128
    .name:           _ZN9rocsparseL36gtsv_interleaved_batch_thomas_kernelILj128EfEEviiiPKT0_S3_S3_PS1_S4_S4_
    .private_segment_fixed_size: 0
    .sgpr_count:     30
    .sgpr_spill_count: 0
    .symbol:         _ZN9rocsparseL36gtsv_interleaved_batch_thomas_kernelILj128EfEEviiiPKT0_S3_S3_PS1_S4_S4_.kd
    .uniform_work_group_size: 1
    .uses_dynamic_stack: false
    .vgpr_count:     27
    .vgpr_spill_count: 0
    .wavefront_size: 32
    .workgroup_processor_mode: 1
  - .args:
      - .offset:         0
        .size:           4
        .value_kind:     by_value
      - .offset:         4
        .size:           4
        .value_kind:     by_value
      - .offset:         8
        .size:           4
        .value_kind:     by_value
      - .address_space:  global
        .offset:         16
        .size:           8
        .value_kind:     global_buffer
      - .address_space:  global
        .offset:         24
        .size:           8
        .value_kind:     global_buffer
      - .address_space:  global
        .offset:         32
        .size:           8
        .value_kind:     global_buffer
      - .address_space:  global
        .offset:         40
        .size:           8
        .value_kind:     global_buffer
      - .address_space:  global
        .offset:         48
        .size:           8
        .value_kind:     global_buffer
      - .address_space:  global
        .offset:         56
        .size:           8
        .value_kind:     global_buffer
    .group_segment_fixed_size: 0
    .kernarg_segment_align: 8
    .kernarg_segment_size: 64
    .language:       OpenCL C
    .language_version:
      - 2
      - 0
    .max_flat_workgroup_size: 128
    .name:           _ZN9rocsparseL32gtsv_interleaved_batch_lu_kernelILj128EfEEviiiPT0_S2_S2_S2_PiS2_
    .private_segment_fixed_size: 0
    .sgpr_count:     24
    .sgpr_spill_count: 0
    .symbol:         _ZN9rocsparseL32gtsv_interleaved_batch_lu_kernelILj128EfEEviiiPT0_S2_S2_S2_PiS2_.kd
    .uniform_work_group_size: 1
    .uses_dynamic_stack: false
    .vgpr_count:     35
    .vgpr_spill_count: 0
    .wavefront_size: 32
    .workgroup_processor_mode: 1
  - .args:
      - .offset:         0
        .size:           4
        .value_kind:     by_value
      - .offset:         4
        .size:           4
        .value_kind:     by_value
      - .offset:         8
        .size:           4
        .value_kind:     by_value
      - .actual_access:  read_only
        .address_space:  global
        .offset:         16
        .size:           8
        .value_kind:     global_buffer
      - .address_space:  global
        .offset:         24
        .size:           8
        .value_kind:     global_buffer
      - .address_space:  global
        .offset:         32
        .size:           8
        .value_kind:     global_buffer
      - .address_space:  global
        .offset:         40
        .size:           8
        .value_kind:     global_buffer
      - .address_space:  global
        .offset:         48
        .size:           8
        .value_kind:     global_buffer
    .group_segment_fixed_size: 0
    .kernarg_segment_align: 8
    .kernarg_segment_size: 56
    .language:       OpenCL C
    .language_version:
      - 2
      - 0
    .max_flat_workgroup_size: 128
    .name:           _ZN9rocsparseL32gtsv_interleaved_batch_qr_kernelILj128EfEEviiiPKT0_PS1_S4_S4_S4_
    .private_segment_fixed_size: 0
    .sgpr_count:     22
    .sgpr_spill_count: 0
    .symbol:         _ZN9rocsparseL32gtsv_interleaved_batch_qr_kernelILj128EfEEviiiPKT0_PS1_S4_S4_S4_.kd
    .uniform_work_group_size: 1
    .uses_dynamic_stack: false
    .vgpr_count:     36
    .vgpr_spill_count: 0
    .wavefront_size: 32
    .workgroup_processor_mode: 1
  - .args:
      - .offset:         0
        .size:           4
        .value_kind:     by_value
      - .offset:         4
        .size:           4
        .value_kind:     by_value
      - .offset:         8
        .size:           4
        .value_kind:     by_value
      - .actual_access:  read_only
        .address_space:  global
        .offset:         16
        .size:           8
        .value_kind:     global_buffer
      - .actual_access:  read_only
        .address_space:  global
        .offset:         24
        .size:           8
        .value_kind:     global_buffer
      - .actual_access:  read_only
        .address_space:  global
        .offset:         32
        .size:           8
        .value_kind:     global_buffer
      - .address_space:  global
        .offset:         40
        .size:           8
        .value_kind:     global_buffer
      - .address_space:  global
        .offset:         48
        .size:           8
        .value_kind:     global_buffer
      - .address_space:  global
        .offset:         56
        .size:           8
        .value_kind:     global_buffer
    .group_segment_fixed_size: 0
    .kernarg_segment_align: 8
    .kernarg_segment_size: 64
    .language:       OpenCL C
    .language_version:
      - 2
      - 0
    .max_flat_workgroup_size: 128
    .name:           _ZN9rocsparseL36gtsv_interleaved_batch_thomas_kernelILj128EdEEviiiPKT0_S3_S3_PS1_S4_S4_
    .private_segment_fixed_size: 0
    .sgpr_count:     28
    .sgpr_spill_count: 0
    .symbol:         _ZN9rocsparseL36gtsv_interleaved_batch_thomas_kernelILj128EdEEviiiPKT0_S3_S3_PS1_S4_S4_.kd
    .uniform_work_group_size: 1
    .uses_dynamic_stack: false
    .vgpr_count:     30
    .vgpr_spill_count: 0
    .wavefront_size: 32
    .workgroup_processor_mode: 1
  - .args:
      - .offset:         0
        .size:           4
        .value_kind:     by_value
      - .offset:         4
        .size:           4
        .value_kind:     by_value
      - .offset:         8
        .size:           4
        .value_kind:     by_value
      - .address_space:  global
        .offset:         16
        .size:           8
        .value_kind:     global_buffer
      - .address_space:  global
        .offset:         24
        .size:           8
        .value_kind:     global_buffer
      - .address_space:  global
        .offset:         32
        .size:           8
        .value_kind:     global_buffer
      - .address_space:  global
        .offset:         40
        .size:           8
        .value_kind:     global_buffer
      - .address_space:  global
        .offset:         48
        .size:           8
        .value_kind:     global_buffer
      - .address_space:  global
        .offset:         56
        .size:           8
        .value_kind:     global_buffer
    .group_segment_fixed_size: 0
    .kernarg_segment_align: 8
    .kernarg_segment_size: 64
    .language:       OpenCL C
    .language_version:
      - 2
      - 0
    .max_flat_workgroup_size: 128
    .name:           _ZN9rocsparseL32gtsv_interleaved_batch_lu_kernelILj128EdEEviiiPT0_S2_S2_S2_PiS2_
    .private_segment_fixed_size: 0
    .sgpr_count:     24
    .sgpr_spill_count: 0
    .symbol:         _ZN9rocsparseL32gtsv_interleaved_batch_lu_kernelILj128EdEEviiiPT0_S2_S2_S2_PiS2_.kd
    .uniform_work_group_size: 1
    .uses_dynamic_stack: false
    .vgpr_count:     46
    .vgpr_spill_count: 0
    .wavefront_size: 32
    .workgroup_processor_mode: 1
  - .args:
      - .offset:         0
        .size:           4
        .value_kind:     by_value
      - .offset:         4
        .size:           4
        .value_kind:     by_value
      - .offset:         8
        .size:           4
        .value_kind:     by_value
      - .actual_access:  read_only
        .address_space:  global
        .offset:         16
        .size:           8
        .value_kind:     global_buffer
      - .address_space:  global
        .offset:         24
        .size:           8
        .value_kind:     global_buffer
      - .address_space:  global
        .offset:         32
        .size:           8
        .value_kind:     global_buffer
      - .address_space:  global
        .offset:         40
        .size:           8
        .value_kind:     global_buffer
      - .address_space:  global
        .offset:         48
        .size:           8
        .value_kind:     global_buffer
    .group_segment_fixed_size: 0
    .kernarg_segment_align: 8
    .kernarg_segment_size: 56
    .language:       OpenCL C
    .language_version:
      - 2
      - 0
    .max_flat_workgroup_size: 128
    .name:           _ZN9rocsparseL32gtsv_interleaved_batch_qr_kernelILj128EdEEviiiPKT0_PS1_S4_S4_S4_
    .private_segment_fixed_size: 0
    .sgpr_count:     22
    .sgpr_spill_count: 0
    .symbol:         _ZN9rocsparseL32gtsv_interleaved_batch_qr_kernelILj128EdEEviiiPKT0_PS1_S4_S4_S4_.kd
    .uniform_work_group_size: 1
    .uses_dynamic_stack: false
    .vgpr_count:     45
    .vgpr_spill_count: 0
    .wavefront_size: 32
    .workgroup_processor_mode: 1
  - .args:
      - .offset:         0
        .size:           4
        .value_kind:     by_value
      - .offset:         4
        .size:           4
        .value_kind:     by_value
      - .offset:         8
        .size:           4
        .value_kind:     by_value
      - .actual_access:  read_only
        .address_space:  global
        .offset:         16
        .size:           8
        .value_kind:     global_buffer
      - .actual_access:  read_only
        .address_space:  global
        .offset:         24
        .size:           8
        .value_kind:     global_buffer
      - .actual_access:  read_only
        .address_space:  global
        .offset:         32
        .size:           8
        .value_kind:     global_buffer
      - .address_space:  global
        .offset:         40
        .size:           8
        .value_kind:     global_buffer
      - .address_space:  global
        .offset:         48
        .size:           8
        .value_kind:     global_buffer
      - .address_space:  global
        .offset:         56
        .size:           8
        .value_kind:     global_buffer
    .group_segment_fixed_size: 0
    .kernarg_segment_align: 8
    .kernarg_segment_size: 64
    .language:       OpenCL C
    .language_version:
      - 2
      - 0
    .max_flat_workgroup_size: 128
    .name:           _ZN9rocsparseL36gtsv_interleaved_batch_thomas_kernelILj128E21rocsparse_complex_numIfEEEviiiPKT0_S5_S5_PS3_S6_S6_
    .private_segment_fixed_size: 0
    .sgpr_count:     30
    .sgpr_spill_count: 0
    .symbol:         _ZN9rocsparseL36gtsv_interleaved_batch_thomas_kernelILj128E21rocsparse_complex_numIfEEEviiiPKT0_S5_S5_PS3_S6_S6_.kd
    .uniform_work_group_size: 1
    .uses_dynamic_stack: false
    .vgpr_count:     28
    .vgpr_spill_count: 0
    .wavefront_size: 32
    .workgroup_processor_mode: 1
  - .args:
      - .offset:         0
        .size:           4
        .value_kind:     by_value
      - .offset:         4
        .size:           4
        .value_kind:     by_value
      - .offset:         8
        .size:           4
        .value_kind:     by_value
      - .address_space:  global
        .offset:         16
        .size:           8
        .value_kind:     global_buffer
      - .address_space:  global
        .offset:         24
        .size:           8
        .value_kind:     global_buffer
      - .address_space:  global
        .offset:         32
        .size:           8
        .value_kind:     global_buffer
      - .address_space:  global
        .offset:         40
        .size:           8
        .value_kind:     global_buffer
      - .address_space:  global
        .offset:         48
        .size:           8
        .value_kind:     global_buffer
      - .address_space:  global
        .offset:         56
        .size:           8
        .value_kind:     global_buffer
    .group_segment_fixed_size: 0
    .kernarg_segment_align: 8
    .kernarg_segment_size: 64
    .language:       OpenCL C
    .language_version:
      - 2
      - 0
    .max_flat_workgroup_size: 128
    .name:           _ZN9rocsparseL32gtsv_interleaved_batch_lu_kernelILj128E21rocsparse_complex_numIfEEEviiiPT0_S4_S4_S4_PiS4_
    .private_segment_fixed_size: 0
    .sgpr_count:     24
    .sgpr_spill_count: 0
    .symbol:         _ZN9rocsparseL32gtsv_interleaved_batch_lu_kernelILj128E21rocsparse_complex_numIfEEEviiiPT0_S4_S4_S4_PiS4_.kd
    .uniform_work_group_size: 1
    .uses_dynamic_stack: false
    .vgpr_count:     47
    .vgpr_spill_count: 0
    .wavefront_size: 32
    .workgroup_processor_mode: 1
  - .args:
      - .offset:         0
        .size:           4
        .value_kind:     by_value
      - .offset:         4
        .size:           4
        .value_kind:     by_value
      - .offset:         8
        .size:           4
        .value_kind:     by_value
      - .actual_access:  read_only
        .address_space:  global
        .offset:         16
        .size:           8
        .value_kind:     global_buffer
      - .address_space:  global
        .offset:         24
        .size:           8
        .value_kind:     global_buffer
      - .address_space:  global
        .offset:         32
        .size:           8
        .value_kind:     global_buffer
      - .address_space:  global
        .offset:         40
        .size:           8
        .value_kind:     global_buffer
      - .address_space:  global
        .offset:         48
        .size:           8
        .value_kind:     global_buffer
    .group_segment_fixed_size: 0
    .kernarg_segment_align: 8
    .kernarg_segment_size: 56
    .language:       OpenCL C
    .language_version:
      - 2
      - 0
    .max_flat_workgroup_size: 128
    .name:           _ZN9rocsparseL32gtsv_interleaved_batch_qr_kernelILj128E21rocsparse_complex_numIfEEEviiiPKT0_PS3_S6_S6_S6_
    .private_segment_fixed_size: 0
    .sgpr_count:     22
    .sgpr_spill_count: 0
    .symbol:         _ZN9rocsparseL32gtsv_interleaved_batch_qr_kernelILj128E21rocsparse_complex_numIfEEEviiiPKT0_PS3_S6_S6_S6_.kd
    .uniform_work_group_size: 1
    .uses_dynamic_stack: false
    .vgpr_count:     45
    .vgpr_spill_count: 0
    .wavefront_size: 32
    .workgroup_processor_mode: 1
  - .args:
      - .offset:         0
        .size:           4
        .value_kind:     by_value
      - .offset:         4
        .size:           4
        .value_kind:     by_value
      - .offset:         8
        .size:           4
        .value_kind:     by_value
      - .actual_access:  read_only
        .address_space:  global
        .offset:         16
        .size:           8
        .value_kind:     global_buffer
      - .actual_access:  read_only
        .address_space:  global
        .offset:         24
        .size:           8
        .value_kind:     global_buffer
      - .actual_access:  read_only
        .address_space:  global
        .offset:         32
        .size:           8
        .value_kind:     global_buffer
      - .address_space:  global
        .offset:         40
        .size:           8
        .value_kind:     global_buffer
      - .address_space:  global
        .offset:         48
        .size:           8
        .value_kind:     global_buffer
      - .address_space:  global
        .offset:         56
        .size:           8
        .value_kind:     global_buffer
    .group_segment_fixed_size: 0
    .kernarg_segment_align: 8
    .kernarg_segment_size: 64
    .language:       OpenCL C
    .language_version:
      - 2
      - 0
    .max_flat_workgroup_size: 128
    .name:           _ZN9rocsparseL36gtsv_interleaved_batch_thomas_kernelILj128E21rocsparse_complex_numIdEEEviiiPKT0_S5_S5_PS3_S6_S6_
    .private_segment_fixed_size: 0
    .sgpr_count:     27
    .sgpr_spill_count: 0
    .symbol:         _ZN9rocsparseL36gtsv_interleaved_batch_thomas_kernelILj128E21rocsparse_complex_numIdEEEviiiPKT0_S5_S5_PS3_S6_S6_.kd
    .uniform_work_group_size: 1
    .uses_dynamic_stack: false
    .vgpr_count:     38
    .vgpr_spill_count: 0
    .wavefront_size: 32
    .workgroup_processor_mode: 1
  - .args:
      - .offset:         0
        .size:           4
        .value_kind:     by_value
      - .offset:         4
        .size:           4
        .value_kind:     by_value
      - .offset:         8
        .size:           4
        .value_kind:     by_value
      - .address_space:  global
        .offset:         16
        .size:           8
        .value_kind:     global_buffer
      - .address_space:  global
        .offset:         24
        .size:           8
        .value_kind:     global_buffer
      - .address_space:  global
        .offset:         32
        .size:           8
        .value_kind:     global_buffer
      - .address_space:  global
        .offset:         40
        .size:           8
        .value_kind:     global_buffer
      - .address_space:  global
        .offset:         48
        .size:           8
        .value_kind:     global_buffer
      - .address_space:  global
        .offset:         56
        .size:           8
        .value_kind:     global_buffer
    .group_segment_fixed_size: 8192
    .kernarg_segment_align: 8
    .kernarg_segment_size: 64
    .language:       OpenCL C
    .language_version:
      - 2
      - 0
    .max_flat_workgroup_size: 128
    .name:           _ZN9rocsparseL32gtsv_interleaved_batch_lu_kernelILj128E21rocsparse_complex_numIdEEEviiiPT0_S4_S4_S4_PiS4_
    .private_segment_fixed_size: 24
    .sgpr_count:     26
    .sgpr_spill_count: 0
    .symbol:         _ZN9rocsparseL32gtsv_interleaved_batch_lu_kernelILj128E21rocsparse_complex_numIdEEEviiiPT0_S4_S4_S4_PiS4_.kd
    .uniform_work_group_size: 1
    .uses_dynamic_stack: false
    .vgpr_count:     83
    .vgpr_spill_count: 0
    .wavefront_size: 32
    .workgroup_processor_mode: 1
  - .args:
      - .offset:         0
        .size:           4
        .value_kind:     by_value
      - .offset:         4
        .size:           4
        .value_kind:     by_value
      - .offset:         8
        .size:           4
        .value_kind:     by_value
      - .actual_access:  read_only
        .address_space:  global
        .offset:         16
        .size:           8
        .value_kind:     global_buffer
      - .address_space:  global
        .offset:         24
        .size:           8
        .value_kind:     global_buffer
      - .address_space:  global
        .offset:         32
        .size:           8
        .value_kind:     global_buffer
      - .address_space:  global
        .offset:         40
        .size:           8
        .value_kind:     global_buffer
      - .address_space:  global
        .offset:         48
        .size:           8
        .value_kind:     global_buffer
    .group_segment_fixed_size: 0
    .kernarg_segment_align: 8
    .kernarg_segment_size: 56
    .language:       OpenCL C
    .language_version:
      - 2
      - 0
    .max_flat_workgroup_size: 128
    .name:           _ZN9rocsparseL32gtsv_interleaved_batch_qr_kernelILj128E21rocsparse_complex_numIdEEEviiiPKT0_PS3_S6_S6_S6_
    .private_segment_fixed_size: 0
    .sgpr_count:     22
    .sgpr_spill_count: 0
    .symbol:         _ZN9rocsparseL32gtsv_interleaved_batch_qr_kernelILj128E21rocsparse_complex_numIdEEEviiiPKT0_PS3_S6_S6_S6_.kd
    .uniform_work_group_size: 1
    .uses_dynamic_stack: false
    .vgpr_count:     79
    .vgpr_spill_count: 0
    .wavefront_size: 32
    .workgroup_processor_mode: 1
amdhsa.target:   amdgcn-amd-amdhsa--gfx1100
amdhsa.version:
  - 1
  - 2
...

	.end_amdgpu_metadata
